;; amdgpu-corpus repo=ROCm/rocSPARSE kind=compiled arch=gfx1030 opt=O3
	.amdgcn_target "amdgcn-amd-amdhsa--gfx1030"
	.amdhsa_code_object_version 6
	.section	.text._ZN9rocsparseL36gtsv_interleaved_batch_thomas_kernelILj128EfEEviiiPKT0_S3_S3_PS1_S4_S4_,"axG",@progbits,_ZN9rocsparseL36gtsv_interleaved_batch_thomas_kernelILj128EfEEviiiPKT0_S3_S3_PS1_S4_S4_,comdat
	.globl	_ZN9rocsparseL36gtsv_interleaved_batch_thomas_kernelILj128EfEEviiiPKT0_S3_S3_PS1_S4_S4_ ; -- Begin function _ZN9rocsparseL36gtsv_interleaved_batch_thomas_kernelILj128EfEEviiiPKT0_S3_S3_PS1_S4_S4_
	.p2align	8
	.type	_ZN9rocsparseL36gtsv_interleaved_batch_thomas_kernelILj128EfEEviiiPKT0_S3_S3_PS1_S4_S4_,@function
_ZN9rocsparseL36gtsv_interleaved_batch_thomas_kernelILj128EfEEviiiPKT0_S3_S3_PS1_S4_S4_: ; @_ZN9rocsparseL36gtsv_interleaved_batch_thomas_kernelILj128EfEEviiiPKT0_S3_S3_PS1_S4_S4_
; %bb.0:
	s_load_dwordx4 s[16:19], s[4:5], 0x0
	s_lshl_b32 s20, s6, 7
	s_mov_b32 s0, exec_lo
	v_or_b32_e32 v1, s20, v0
	s_waitcnt lgkmcnt(0)
	v_cmpx_gt_i32_e64 s17, v1
	s_cbranch_execz .LBB0_9
; %bb.1:
	s_clause 0x1
	s_load_dwordx8 s[8:15], s[4:5], 0x18
	s_load_dwordx2 s[2:3], s[4:5], 0x38
	v_ashrrev_i32_e32 v2, 31, v1
	s_cmp_gt_i32 s16, 1
	s_cselect_b32 s24, -1, 0
	v_lshlrev_b64 v[8:9], 2, v[1:2]
	s_waitcnt lgkmcnt(0)
	v_add_co_u32 v3, vcc_lo, s10, v8
	v_add_co_ci_u32_e64 v4, null, s11, v9, vcc_lo
	v_add_co_u32 v5, vcc_lo, s8, v8
	v_add_co_ci_u32_e64 v6, null, s9, v9, vcc_lo
	;; [unrolled: 2-line block ×3, first 2 shown]
	global_load_dword v7, v[3:4], off
	global_load_dword v10, v[5:6], off
	;; [unrolled: 1-line block ×3, first 2 shown]
	s_waitcnt vmcnt(1)
	v_div_scale_f32 v3, null, v10, v10, v7
	s_waitcnt vmcnt(0)
	v_div_scale_f32 v5, null, v10, v10, v11
	v_div_scale_f32 v13, vcc_lo, v7, v10, v7
	v_rcp_f32_e32 v6, v3
	v_rcp_f32_e32 v12, v5
	v_div_scale_f32 v15, s0, v11, v10, v11
	v_fma_f32 v4, -v3, v6, 1.0
	v_fma_f32 v14, -v5, v12, 1.0
	v_fmac_f32_e32 v6, v4, v6
	v_fmac_f32_e32 v12, v14, v12
	v_mul_f32_e32 v14, v13, v6
	v_mul_f32_e32 v16, v15, v12
	v_fma_f32 v4, -v3, v14, v13
	v_fma_f32 v17, -v5, v16, v15
	v_fmac_f32_e32 v14, v4, v6
	v_fmac_f32_e32 v16, v17, v12
	v_fma_f32 v13, -v3, v14, v13
	v_fma_f32 v5, -v5, v16, v15
	v_add_co_u32 v3, s1, s12, v8
	v_add_co_ci_u32_e64 v4, null, s13, v9, s1
	v_div_fmas_f32 v13, v13, v6, v14
	s_mov_b32 vcc_lo, s0
	v_div_fmas_f32 v12, v5, v12, v16
	v_add_co_u32 v5, vcc_lo, s14, v8
	v_add_co_ci_u32_e64 v6, null, s15, v9, vcc_lo
	v_div_fixup_f32 v7, v13, v10, v7
	v_div_fixup_f32 v10, v12, v10, v11
	s_and_b32 vcc_lo, exec_lo, s24
	global_store_dword v[3:4], v7, off
	global_store_dword v[5:6], v10, off
	s_cbranch_vccnz .LBB0_3
; %bb.2:
	s_add_i32 s19, s16, -1
	s_cbranch_execz .LBB0_4
	s_branch .LBB0_6
.LBB0_3:
                                        ; implicit-def: $sgpr19
.LBB0_4:
	s_load_dwordx2 s[4:5], s[4:5], 0x10
	s_ashr_i32 s19, s18, 31
	s_ashr_i32 s1, s17, 31
	s_lshl_b64 s[6:7], s[18:19], 2
	s_mov_b32 s0, s17
	v_add_co_u32 v10, vcc_lo, s6, v8
	v_add3_u32 v7, s20, s18, v0
	s_lshl_b64 s[20:21], s[0:1], 2
	v_add_co_ci_u32_e64 v11, null, s7, v9, vcc_lo
	v_add_co_u32 v0, vcc_lo, s20, v8
	v_add_co_ci_u32_e64 v9, null, s21, v9, vcc_lo
	s_add_i32 s19, s16, -1
	s_mov_b32 s22, 0
	s_mov_b32 s1, s19
.LBB0_5:                                ; =>This Inner Loop Header: Depth=1
	v_ashrrev_i32_e32 v8, 31, v7
	v_add_co_u32 v12, vcc_lo, s10, v10
	s_ashr_i32 s23, s22, 31
	v_add_co_ci_u32_e64 v13, null, s11, v11, vcc_lo
	v_add_co_u32 v14, vcc_lo, s8, v10
	s_lshl_b64 s[26:27], s[22:23], 2
	v_add_co_ci_u32_e64 v15, null, s9, v11, vcc_lo
	v_add_co_u32 v16, vcc_lo, v3, s26
	v_lshlrev_b64 v[18:19], 2, v[7:8]
	v_add_co_ci_u32_e64 v17, null, s27, v4, vcc_lo
	global_load_dword v8, v[14:15], off
	global_load_dword v20, v[16:17], off
	s_waitcnt lgkmcnt(0)
	v_add_co_u32 v14, vcc_lo, s4, v18
	v_add_co_ci_u32_e64 v15, null, s5, v19, vcc_lo
	global_load_dword v21, v[14:15], off
	global_load_dword v19, v[12:13], off
	v_add_co_u32 v12, vcc_lo, s2, v10
	v_add_co_ci_u32_e64 v13, null, s3, v11, vcc_lo
	v_add_co_u32 v14, vcc_lo, s12, v0
	v_add_co_ci_u32_e64 v15, null, s13, v9, vcc_lo
	v_add_co_u32 v18, s0, v5, s26
	v_add_nc_u32_e32 v7, s18, v7
	s_add_i32 s1, s1, -1
	s_add_i32 s22, s22, s17
	s_cmp_eq_u32 s1, 0
	s_waitcnt vmcnt(1)
	v_fma_f32 v20, -v21, v20, v8
	s_waitcnt vmcnt(0)
	v_div_scale_f32 v22, null, v20, v20, v19
	v_div_scale_f32 v24, vcc_lo, v19, v20, v19
	v_rcp_f32_e32 v23, v22
	v_fma_f32 v25, -v22, v23, 1.0
	v_fmac_f32_e32 v23, v25, v23
	v_mul_f32_e32 v25, v24, v23
	v_fma_f32 v26, -v22, v25, v24
	v_fmac_f32_e32 v25, v26, v23
	v_fma_f32 v22, -v22, v25, v24
	v_div_fmas_f32 v22, v22, v23, v25
	v_div_fixup_f32 v20, v22, v20, v19
	v_add_co_ci_u32_e64 v19, null, s27, v6, s0
	global_load_dword v12, v[12:13], off
	global_load_dword v13, v[18:19], off
	global_store_dword v[14:15], v20, off
	global_load_dword v14, v[16:17], off
	s_waitcnt vmcnt(1)
	v_fma_f32 v15, -v21, v13, v12
	s_waitcnt vmcnt(0)
	v_fma_f32 v8, -v21, v14, v8
	v_div_scale_f32 v14, null, v8, v8, v15
	v_div_scale_f32 v17, vcc_lo, v15, v8, v15
	v_rcp_f32_e32 v16, v14
	v_fma_f32 v12, -v14, v16, 1.0
	v_fmac_f32_e32 v16, v12, v16
	v_add_co_u32 v12, s0, s14, v0
	v_mul_f32_e32 v18, v17, v16
	v_fma_f32 v13, -v14, v18, v17
	v_fmac_f32_e32 v18, v13, v16
	v_add_co_ci_u32_e64 v13, null, s15, v9, s0
	v_add_co_u32 v10, s0, v10, s6
	v_fma_f32 v14, -v14, v18, v17
	v_add_co_ci_u32_e64 v11, null, s7, v11, s0
	v_div_fmas_f32 v14, v14, v16, v18
	v_add_co_u32 v0, vcc_lo, v0, s20
	v_add_co_ci_u32_e64 v9, null, s21, v9, vcc_lo
	v_div_fixup_f32 v8, v14, v8, v15
	global_store_dword v[12:13], v8, off
	s_cbranch_scc0 .LBB0_5
.LBB0_6:
	s_mul_i32 s0, s17, s19
	s_ashr_i32 s1, s0, 31
	s_lshl_b64 s[0:1], s[0:1], 2
	v_add_co_u32 v7, vcc_lo, v5, s0
	v_add_co_ci_u32_e64 v8, null, s1, v6, vcc_lo
	s_mul_i32 s0, s18, s19
	s_ashr_i32 s1, s0, 31
	global_load_dword v0, v[7:8], off
	s_lshl_b64 s[2:3], s[0:1], 2
	v_add_co_u32 v7, vcc_lo, v1, s2
	v_add_co_ci_u32_e64 v8, null, s3, v2, vcc_lo
	s_andn2_b32 vcc_lo, exec_lo, s24
	s_waitcnt vmcnt(0)
	global_store_dword v[7:8], v0, off
	s_cbranch_vccnz .LBB0_9
; %bb.7:
	s_add_i32 s2, s16, -2
	s_mov_b32 s4, 0
	s_mul_i32 s1, s18, s2
	s_mul_i32 s2, s17, s2
	s_inst_prefetch 0x1
	.p2align	6
.LBB0_8:                                ; =>This Inner Loop Header: Depth=1
	s_ashr_i32 s3, s2, 31
	s_add_i32 s6, s0, s4
	s_lshl_b64 s[8:9], s[2:3], 2
	s_ashr_i32 s7, s6, 31
	v_add_co_u32 v7, vcc_lo, v5, s8
	v_add_co_ci_u32_e64 v8, null, s9, v6, vcc_lo
	v_add_co_u32 v9, vcc_lo, v3, s8
	s_lshl_b64 s[6:7], s[6:7], 2
	v_add_co_ci_u32_e64 v10, null, s9, v4, vcc_lo
	v_add_co_u32 v11, vcc_lo, v1, s6
	v_add_co_ci_u32_e64 v12, null, s7, v2, vcc_lo
	global_load_dword v0, v[7:8], off
	global_load_dword v9, v[9:10], off
	;; [unrolled: 1-line block ×3, first 2 shown]
	s_add_i32 s6, s1, s4
	s_add_i32 s19, s19, -1
	s_ashr_i32 s7, s6, 31
	s_sub_i32 s4, s4, s18
	s_lshl_b64 s[6:7], s[6:7], 2
	s_sub_i32 s2, s2, s17
	v_add_co_u32 v7, vcc_lo, v1, s6
	v_add_co_ci_u32_e64 v8, null, s7, v2, vcc_lo
	s_cmp_lg_u32 s19, 0
	s_waitcnt vmcnt(0)
	v_fma_f32 v0, -v9, v10, v0
	global_store_dword v[7:8], v0, off
	s_cbranch_scc1 .LBB0_8
.LBB0_9:
	s_inst_prefetch 0x2
	s_endpgm
	.section	.rodata,"a",@progbits
	.p2align	6, 0x0
	.amdhsa_kernel _ZN9rocsparseL36gtsv_interleaved_batch_thomas_kernelILj128EfEEviiiPKT0_S3_S3_PS1_S4_S4_
		.amdhsa_group_segment_fixed_size 0
		.amdhsa_private_segment_fixed_size 0
		.amdhsa_kernarg_size 64
		.amdhsa_user_sgpr_count 6
		.amdhsa_user_sgpr_private_segment_buffer 1
		.amdhsa_user_sgpr_dispatch_ptr 0
		.amdhsa_user_sgpr_queue_ptr 0
		.amdhsa_user_sgpr_kernarg_segment_ptr 1
		.amdhsa_user_sgpr_dispatch_id 0
		.amdhsa_user_sgpr_flat_scratch_init 0
		.amdhsa_user_sgpr_private_segment_size 0
		.amdhsa_wavefront_size32 1
		.amdhsa_uses_dynamic_stack 0
		.amdhsa_system_sgpr_private_segment_wavefront_offset 0
		.amdhsa_system_sgpr_workgroup_id_x 1
		.amdhsa_system_sgpr_workgroup_id_y 0
		.amdhsa_system_sgpr_workgroup_id_z 0
		.amdhsa_system_sgpr_workgroup_info 0
		.amdhsa_system_vgpr_workitem_id 0
		.amdhsa_next_free_vgpr 27
		.amdhsa_next_free_sgpr 28
		.amdhsa_reserve_vcc 1
		.amdhsa_reserve_flat_scratch 0
		.amdhsa_float_round_mode_32 0
		.amdhsa_float_round_mode_16_64 0
		.amdhsa_float_denorm_mode_32 3
		.amdhsa_float_denorm_mode_16_64 3
		.amdhsa_dx10_clamp 1
		.amdhsa_ieee_mode 1
		.amdhsa_fp16_overflow 0
		.amdhsa_workgroup_processor_mode 1
		.amdhsa_memory_ordered 1
		.amdhsa_forward_progress 1
		.amdhsa_shared_vgpr_count 0
		.amdhsa_exception_fp_ieee_invalid_op 0
		.amdhsa_exception_fp_denorm_src 0
		.amdhsa_exception_fp_ieee_div_zero 0
		.amdhsa_exception_fp_ieee_overflow 0
		.amdhsa_exception_fp_ieee_underflow 0
		.amdhsa_exception_fp_ieee_inexact 0
		.amdhsa_exception_int_div_zero 0
	.end_amdhsa_kernel
	.section	.text._ZN9rocsparseL36gtsv_interleaved_batch_thomas_kernelILj128EfEEviiiPKT0_S3_S3_PS1_S4_S4_,"axG",@progbits,_ZN9rocsparseL36gtsv_interleaved_batch_thomas_kernelILj128EfEEviiiPKT0_S3_S3_PS1_S4_S4_,comdat
.Lfunc_end0:
	.size	_ZN9rocsparseL36gtsv_interleaved_batch_thomas_kernelILj128EfEEviiiPKT0_S3_S3_PS1_S4_S4_, .Lfunc_end0-_ZN9rocsparseL36gtsv_interleaved_batch_thomas_kernelILj128EfEEviiiPKT0_S3_S3_PS1_S4_S4_
                                        ; -- End function
	.set _ZN9rocsparseL36gtsv_interleaved_batch_thomas_kernelILj128EfEEviiiPKT0_S3_S3_PS1_S4_S4_.num_vgpr, 27
	.set _ZN9rocsparseL36gtsv_interleaved_batch_thomas_kernelILj128EfEEviiiPKT0_S3_S3_PS1_S4_S4_.num_agpr, 0
	.set _ZN9rocsparseL36gtsv_interleaved_batch_thomas_kernelILj128EfEEviiiPKT0_S3_S3_PS1_S4_S4_.numbered_sgpr, 28
	.set _ZN9rocsparseL36gtsv_interleaved_batch_thomas_kernelILj128EfEEviiiPKT0_S3_S3_PS1_S4_S4_.num_named_barrier, 0
	.set _ZN9rocsparseL36gtsv_interleaved_batch_thomas_kernelILj128EfEEviiiPKT0_S3_S3_PS1_S4_S4_.private_seg_size, 0
	.set _ZN9rocsparseL36gtsv_interleaved_batch_thomas_kernelILj128EfEEviiiPKT0_S3_S3_PS1_S4_S4_.uses_vcc, 1
	.set _ZN9rocsparseL36gtsv_interleaved_batch_thomas_kernelILj128EfEEviiiPKT0_S3_S3_PS1_S4_S4_.uses_flat_scratch, 0
	.set _ZN9rocsparseL36gtsv_interleaved_batch_thomas_kernelILj128EfEEviiiPKT0_S3_S3_PS1_S4_S4_.has_dyn_sized_stack, 0
	.set _ZN9rocsparseL36gtsv_interleaved_batch_thomas_kernelILj128EfEEviiiPKT0_S3_S3_PS1_S4_S4_.has_recursion, 0
	.set _ZN9rocsparseL36gtsv_interleaved_batch_thomas_kernelILj128EfEEviiiPKT0_S3_S3_PS1_S4_S4_.has_indirect_call, 0
	.section	.AMDGPU.csdata,"",@progbits
; Kernel info:
; codeLenInByte = 1192
; TotalNumSgprs: 30
; NumVgprs: 27
; ScratchSize: 0
; MemoryBound: 0
; FloatMode: 240
; IeeeMode: 1
; LDSByteSize: 0 bytes/workgroup (compile time only)
; SGPRBlocks: 0
; VGPRBlocks: 3
; NumSGPRsForWavesPerEU: 30
; NumVGPRsForWavesPerEU: 27
; Occupancy: 16
; WaveLimiterHint : 0
; COMPUTE_PGM_RSRC2:SCRATCH_EN: 0
; COMPUTE_PGM_RSRC2:USER_SGPR: 6
; COMPUTE_PGM_RSRC2:TRAP_HANDLER: 0
; COMPUTE_PGM_RSRC2:TGID_X_EN: 1
; COMPUTE_PGM_RSRC2:TGID_Y_EN: 0
; COMPUTE_PGM_RSRC2:TGID_Z_EN: 0
; COMPUTE_PGM_RSRC2:TIDIG_COMP_CNT: 0
	.section	.text._ZN9rocsparseL32gtsv_interleaved_batch_lu_kernelILj128EfEEviiiPT0_S2_S2_S2_PiS2_,"axG",@progbits,_ZN9rocsparseL32gtsv_interleaved_batch_lu_kernelILj128EfEEviiiPT0_S2_S2_S2_PiS2_,comdat
	.globl	_ZN9rocsparseL32gtsv_interleaved_batch_lu_kernelILj128EfEEviiiPT0_S2_S2_S2_PiS2_ ; -- Begin function _ZN9rocsparseL32gtsv_interleaved_batch_lu_kernelILj128EfEEviiiPT0_S2_S2_S2_PiS2_
	.p2align	8
	.type	_ZN9rocsparseL32gtsv_interleaved_batch_lu_kernelILj128EfEEviiiPT0_S2_S2_S2_PiS2_,@function
_ZN9rocsparseL32gtsv_interleaved_batch_lu_kernelILj128EfEEviiiPT0_S2_S2_S2_PiS2_: ; @_ZN9rocsparseL32gtsv_interleaved_batch_lu_kernelILj128EfEEviiiPT0_S2_S2_S2_PiS2_
; %bb.0:
	s_load_dwordx4 s[16:19], s[4:5], 0x0
	s_lshl_b32 s6, s6, 7
	s_mov_b32 s0, exec_lo
	v_or_b32_e32 v1, s6, v0
	s_waitcnt lgkmcnt(0)
	v_cmpx_gt_i32_e64 s17, v1
	s_cbranch_execz .LBB1_19
; %bb.1:
	s_clause 0x1
	s_load_dwordx8 s[8:15], s[4:5], 0x18
	s_load_dwordx2 s[2:3], s[4:5], 0x38
	v_ashrrev_i32_e32 v2, 31, v1
	v_mov_b32_e32 v4, 0
	s_add_i32 s7, s16, -1
	s_cmp_lt_i32 s16, 2
	v_lshlrev_b64 v[2:3], 2, v[1:2]
	s_waitcnt lgkmcnt(0)
	v_add_co_u32 v2, vcc_lo, s14, v2
	v_add_co_ci_u32_e64 v3, null, s15, v3, vcc_lo
	global_store_dword v[2:3], v4, off
	s_cbranch_scc1 .LBB1_16
; %bb.2:
	s_load_dwordx2 s[0:1], s[4:5], 0x10
	s_mov_b32 s5, 0
	s_branch .LBB1_4
.LBB1_3:                                ;   in Loop: Header=BB1_4 Depth=1
	s_or_b32 exec_lo, exec_lo, s19
	s_cmp_lg_u32 s4, s7
	s_mov_b32 s5, s4
	s_cbranch_scc0 .LBB1_8
.LBB1_4:                                ; =>This Inner Loop Header: Depth=1
	v_mad_u64_u32 v[4:5], null, s5, s18, v[1:2]
	s_add_i32 s4, s5, 1
	v_add_nc_u32_e32 v6, s18, v4
	v_ashrrev_i32_e32 v5, 31, v4
	v_ashrrev_i32_e32 v7, 31, v6
	v_lshlrev_b64 v[8:9], 2, v[4:5]
	v_lshlrev_b64 v[6:7], 2, v[6:7]
	s_waitcnt lgkmcnt(0)
	v_add_co_u32 v4, vcc_lo, s0, v6
	v_add_co_ci_u32_e64 v5, null, s1, v7, vcc_lo
	v_add_co_u32 v10, vcc_lo, s8, v8
	v_add_co_ci_u32_e64 v11, null, s9, v9, vcc_lo
	global_load_dword v12, v[4:5], off
	global_load_dword v13, v[10:11], off
	s_waitcnt vmcnt(0)
	v_cmp_nlt_f32_e64 s19, |v13|, |v12|
	s_and_saveexec_b32 s20, s19
	s_xor_b32 s19, exec_lo, s20
	s_cbranch_execnz .LBB1_6
; %bb.5:                                ;   in Loop: Header=BB1_4 Depth=1
	s_andn2_saveexec_b32 s19, s19
	s_cbranch_execz .LBB1_3
	s_branch .LBB1_7
.LBB1_6:                                ;   in Loop: Header=BB1_4 Depth=1
	v_mad_u64_u32 v[10:11], null, s5, s17, v[1:2]
	v_add_co_u32 v14, vcc_lo, s8, v6
	v_add_co_ci_u32_e64 v15, null, s9, v7, vcc_lo
	v_add_co_u32 v8, vcc_lo, s10, v8
	v_ashrrev_i32_e32 v11, 31, v10
	v_add_co_ci_u32_e64 v9, null, s11, v9, vcc_lo
	v_add_co_u32 v6, vcc_lo, s10, v6
	v_lshlrev_b64 v[10:11], 2, v[10:11]
	v_add_co_ci_u32_e64 v7, null, s11, v7, vcc_lo
	s_mul_i32 s20, s4, s17
	s_ashr_i32 s21, s20, 31
	v_add_co_u32 v10, vcc_lo, s12, v10
	v_add_co_ci_u32_e64 v11, null, s13, v11, vcc_lo
	global_load_dword v16, v[14:15], off
	s_clause 0x1
	global_load_dword v17, v[8:9], off
	global_load_dword v18, v[6:7], off
	;; [unrolled: 1-line block ×3, first 2 shown]
	v_div_scale_f32 v8, null, v13, v13, v12
	s_lshl_b64 s[20:21], s[20:21], 2
	v_rcp_f32_e32 v9, v8
	v_fma_f32 v11, -v8, v9, 1.0
	v_fmac_f32_e32 v9, v11, v9
	v_div_scale_f32 v11, vcc_lo, v12, v13, v12
	v_mul_f32_e32 v19, v11, v9
	v_fma_f32 v20, -v8, v19, v11
	v_fmac_f32_e32 v19, v20, v9
	v_fma_f32 v8, -v8, v19, v11
	v_div_fmas_f32 v8, v8, v9, v19
	v_div_fixup_f32 v11, v8, v13, v12
	v_add_co_u32 v8, vcc_lo, v2, s20
	v_add_co_ci_u32_e64 v9, null, s21, v3, vcc_lo
	v_mov_b32_e32 v12, s4
	s_waitcnt vmcnt(2)
	v_fma_f32 v13, -v11, v17, v16
	s_waitcnt vmcnt(0)
	v_fma_f32 v10, -v11, v10, v18
	global_store_dword v[8:9], v12, off
	global_store_dword v[4:5], v11, off
	;; [unrolled: 1-line block ×4, first 2 shown]
                                        ; implicit-def: $vgpr6_vgpr7
                                        ; implicit-def: $vgpr8_vgpr9
                                        ; implicit-def: $vgpr10_vgpr11
                                        ; implicit-def: $vgpr12
                                        ; implicit-def: $vgpr13
                                        ; implicit-def: $vgpr4_vgpr5
	s_andn2_saveexec_b32 s19, s19
	s_cbranch_execz .LBB1_3
.LBB1_7:                                ;   in Loop: Header=BB1_4 Depth=1
	s_mul_i32 s20, s5, s17
	v_add_co_u32 v17, vcc_lo, s8, v6
	v_add_nc_u32_e32 v14, s20, v1
	v_add_co_ci_u32_e64 v18, null, s9, v7, vcc_lo
	s_ashr_i32 s21, s20, 31
	v_ashrrev_i32_e32 v15, 31, v14
	s_lshl_b64 s[20:21], s[20:21], 2
	v_lshlrev_b64 v[15:16], 2, v[14:15]
	v_add_co_u32 v15, vcc_lo, s12, v15
	v_add_co_ci_u32_e64 v16, null, s13, v16, vcc_lo
	v_add_co_u32 v19, vcc_lo, s10, v8
	global_load_dword v25, v[17:18], off
	global_load_dword v26, v[15:16], off
	v_add_co_ci_u32_e64 v20, null, s11, v9, vcc_lo
	v_add_co_u32 v21, vcc_lo, s10, v6
	v_add_co_ci_u32_e64 v22, null, s11, v7, vcc_lo
	v_add_co_u32 v8, vcc_lo, s2, v8
	;; [unrolled: 2-line block ×4, first 2 shown]
	s_clause 0x1
	global_load_dword v27, v[19:20], off
	global_load_dword v28, v[21:22], off
	v_add_co_ci_u32_e64 v24, null, s21, v3, vcc_lo
	v_div_scale_f32 v33, vcc_lo, v13, v12, v13
	s_waitcnt vmcnt(3)
	global_store_dword v[19:20], v25, off
	s_waitcnt vmcnt(2)
	global_store_dword v[21:22], v26, off
	global_load_dword v25, v[19:20], off
	s_clause 0x1
	global_load_dword v29, v[6:7], off
	global_load_dword v30, v[8:9], off
	;; [unrolled: 1-line block ×3, first 2 shown]
	v_div_scale_f32 v20, null, v12, v12, v13
	v_rcp_f32_e32 v32, v20
	v_fma_f32 v19, -v20, v32, 1.0
	v_fmac_f32_e32 v32, v19, v32
	v_mul_f32_e32 v34, v33, v32
	v_fma_f32 v19, -v20, v34, v33
	v_fmac_f32_e32 v34, v19, v32
	v_add_nc_u32_e32 v19, s17, v14
	v_fma_f32 v14, -v20, v34, v33
	v_ashrrev_i32_e32 v20, 31, v19
	v_mov_b32_e32 v33, s4
	global_store_dword v[10:11], v12, off
	global_store_dword v[23:24], v33, off
	v_div_fmas_f32 v14, v14, v32, v34
	v_lshlrev_b64 v[19:20], 2, v[19:20]
	v_div_fixup_f32 v12, v14, v12, v13
	global_store_dword v[4:5], v12, off
	s_waitcnt vmcnt(4)
	global_store_dword v[15:16], v28, off
	v_add_co_u32 v10, vcc_lo, s14, v19
	v_add_co_ci_u32_e64 v11, null, s15, v20, vcc_lo
	v_fma_f32 v5, -v12, v28, v26
	s_waitcnt vmcnt(3)
	v_fma_f32 v4, -v12, v25, v27
	s_waitcnt vmcnt(2)
	global_store_dword v[8:9], v29, off
	s_waitcnt vmcnt(1)
	global_store_dword v[6:7], v30, off
	;; [unrolled: 2-line block ×3, first 2 shown]
	global_store_dword v[17:18], v4, off
	global_store_dword v[21:22], v5, off
	s_branch .LBB1_3
.LBB1_8:
	v_mov_b32_e32 v4, 0
	s_mov_b32 s4, 1
	s_branch .LBB1_11
.LBB1_9:                                ;   in Loop: Header=BB1_11 Depth=1
	s_or_b32 exec_lo, exec_lo, s14
	v_mad_u64_u32 v[6:7], null, s4, s18, v[1:2]
	v_ashrrev_i32_e32 v7, 31, v6
	v_lshlrev_b64 v[6:7], 2, v[6:7]
	v_add_co_u32 v6, vcc_lo, s2, v6
	v_add_co_ci_u32_e64 v7, null, s3, v7, vcc_lo
	global_load_dword v4, v[6:7], off
	s_waitcnt vmcnt(0)
	v_add_f32_e32 v5, v5, v4
	v_mov_b32_e32 v4, s4
	global_store_dword v[6:7], v5, off
.LBB1_10:                               ;   in Loop: Header=BB1_11 Depth=1
	s_or_b32 exec_lo, exec_lo, s5
	s_add_i32 s4, s4, 1
	s_cmp_eq_u32 s4, s16
	s_cbranch_scc1 .LBB1_16
.LBB1_11:                               ; =>This Loop Header: Depth=1
                                        ;     Child Loop BB1_14 Depth 2
	s_mul_i32 s14, s4, s17
	s_mov_b32 s5, exec_lo
	s_ashr_i32 s15, s14, 31
	s_lshl_b64 s[14:15], s[14:15], 2
	v_add_co_u32 v5, vcc_lo, v2, s14
	v_add_co_ci_u32_e64 v6, null, s15, v3, vcc_lo
	global_load_dword v5, v[5:6], off
	s_waitcnt vmcnt(0)
	v_cmpx_ge_i32_e64 s4, v5
	s_cbranch_execz .LBB1_10
; %bb.12:                               ;   in Loop: Header=BB1_11 Depth=1
	v_mov_b32_e32 v5, 0
	s_mov_b32 s14, exec_lo
	v_cmpx_gt_u32_e64 s4, v4
	s_cbranch_execz .LBB1_9
; %bb.13:                               ;   in Loop: Header=BB1_11 Depth=1
	v_mul_lo_u32 v6, s18, v4
	v_mov_b32_e32 v5, 0
	v_mov_b32_e32 v8, v1
	s_mov_b32 s15, 0
	v_add_nc_u32_e32 v7, s18, v6
	.p2align	6
.LBB1_14:                               ;   Parent Loop BB1_11 Depth=1
                                        ; =>  This Inner Loop Header: Depth=2
	v_add_nc_u32_e32 v9, v7, v8
	v_add_nc_u32_e32 v11, v6, v8
	v_add_nc_u32_e32 v4, 1, v4
	v_add_nc_u32_e32 v8, s18, v8
	v_ashrrev_i32_e32 v10, 31, v9
	v_ashrrev_i32_e32 v12, 31, v11
	v_lshlrev_b64 v[9:10], 2, v[9:10]
	v_lshlrev_b64 v[11:12], 2, v[11:12]
	v_add_co_u32 v9, vcc_lo, s0, v9
	v_add_co_ci_u32_e64 v10, null, s1, v10, vcc_lo
	v_add_co_u32 v11, vcc_lo, s2, v11
	v_add_co_ci_u32_e64 v12, null, s3, v12, vcc_lo
	global_load_dword v9, v[9:10], off
	global_load_dword v10, v[11:12], off
	v_cmp_le_u32_e32 vcc_lo, s4, v4
	s_or_b32 s15, vcc_lo, s15
	s_waitcnt vmcnt(0)
	v_fma_f32 v5, -v9, v10, v5
	s_andn2_b32 exec_lo, exec_lo, s15
	s_cbranch_execnz .LBB1_14
; %bb.15:                               ;   in Loop: Header=BB1_11 Depth=1
	s_or_b32 exec_lo, exec_lo, s15
	s_branch .LBB1_9
.LBB1_16:
	s_mul_i32 s1, s18, s7
	v_add_nc_u32_e32 v2, s1, v1
	s_sub_i32 s0, s1, s18
	s_cmp_lt_i32 s16, 3
	v_ashrrev_i32_e32 v3, 31, v2
	v_lshlrev_b64 v[2:3], 2, v[2:3]
	v_add_co_u32 v4, vcc_lo, s2, v2
	v_add_co_ci_u32_e64 v5, null, s3, v3, vcc_lo
	v_add_co_u32 v2, vcc_lo, s8, v2
	v_add_co_ci_u32_e64 v3, null, s9, v3, vcc_lo
	global_load_dword v10, v[4:5], off
	global_load_dword v11, v[2:3], off
	s_waitcnt vmcnt(0)
	v_div_scale_f32 v6, null, v11, v11, v10
	v_div_scale_f32 v7, vcc_lo, v10, v11, v10
	v_rcp_f32_e32 v8, v6
	v_fma_f32 v2, -v6, v8, 1.0
	v_fmac_f32_e32 v8, v2, v8
	v_add_nc_u32_e32 v2, s0, v1
	v_mul_f32_e32 v9, v7, v8
	v_ashrrev_i32_e32 v3, 31, v2
	v_fma_f32 v12, -v6, v9, v7
	v_lshlrev_b64 v[2:3], 2, v[2:3]
	v_fmac_f32_e32 v9, v12, v8
	v_fma_f32 v12, -v6, v9, v7
	v_add_co_u32 v6, s0, s2, v2
	v_add_co_ci_u32_e64 v7, null, s3, v3, s0
	v_div_fmas_f32 v12, v12, v8, v9
	v_add_co_u32 v8, vcc_lo, s10, v2
	v_add_co_ci_u32_e64 v9, null, s11, v3, vcc_lo
	v_div_fixup_f32 v10, v12, v11, v10
	v_add_co_u32 v2, vcc_lo, s8, v2
	v_add_co_ci_u32_e64 v3, null, s9, v3, vcc_lo
	global_load_dword v8, v[8:9], off
	global_store_dword v[4:5], v10, off
	global_load_dword v4, v[6:7], off
	global_load_dword v2, v[2:3], off
	s_waitcnt vmcnt(1)
	v_fma_f32 v3, -v10, v8, v4
	s_waitcnt vmcnt(0)
	v_div_scale_f32 v4, null, v2, v2, v3
	v_rcp_f32_e32 v5, v4
	v_fma_f32 v8, -v4, v5, 1.0
	v_fmac_f32_e32 v5, v8, v5
	v_div_scale_f32 v8, vcc_lo, v3, v2, v3
	v_mul_f32_e32 v9, v8, v5
	v_fma_f32 v10, -v4, v9, v8
	v_fmac_f32_e32 v9, v10, v5
	v_fma_f32 v4, -v4, v9, v8
	v_div_fmas_f32 v4, v4, v5, v9
	v_div_fixup_f32 v2, v4, v2, v3
	global_store_dword v[6:7], v2, off
	s_cbranch_scc1 .LBB1_19
; %bb.17:
	s_add_i32 s5, s16, -3
	s_add_i32 s0, s16, -2
	s_mul_i32 s4, s17, s5
	s_mul_i32 s5, s18, s5
	v_add3_u32 v2, s6, s4, v0
	s_mul_i32 s4, s18, s0
.LBB1_18:                               ; =>This Inner Loop Header: Depth=1
	v_add_nc_u32_e32 v4, s5, v1
	v_ashrrev_i32_e32 v3, 31, v2
	v_add_nc_u32_e32 v6, s4, v1
	v_add_nc_u32_e32 v8, s1, v1
	v_subrev_nc_u32_e32 v1, s18, v1
	v_ashrrev_i32_e32 v5, 31, v4
	v_lshlrev_b64 v[10:11], 2, v[2:3]
	v_ashrrev_i32_e32 v7, 31, v6
	v_ashrrev_i32_e32 v9, 31, v8
	v_subrev_nc_u32_e32 v2, s17, v2
	v_lshlrev_b64 v[3:4], 2, v[4:5]
	s_add_i32 s0, s0, -1
	v_lshlrev_b64 v[5:6], 2, v[6:7]
	v_lshlrev_b64 v[7:8], 2, v[8:9]
	v_add_co_u32 v9, vcc_lo, s12, v10
	v_add_co_ci_u32_e64 v10, null, s13, v11, vcc_lo
	v_add_co_u32 v11, vcc_lo, s2, v3
	v_add_co_ci_u32_e64 v12, null, s3, v4, vcc_lo
	;; [unrolled: 2-line block ×4, first 2 shown]
	v_add_co_u32 v7, vcc_lo, s2, v7
	global_load_dword v0, v[9:10], off
	v_add_co_ci_u32_e64 v8, null, s3, v8, vcc_lo
	global_load_dword v9, v[11:12], off
	global_load_dword v10, v[13:14], off
	;; [unrolled: 1-line block ×3, first 2 shown]
	v_add_co_u32 v3, vcc_lo, s8, v3
	v_add_co_ci_u32_e64 v4, null, s9, v4, vcc_lo
	global_load_dword v6, v[7:8], off
	global_load_dword v3, v[3:4], off
	s_cmp_lg_u32 s0, 0
	s_waitcnt vmcnt(2)
	v_fma_f32 v4, -v10, v5, v9
	s_waitcnt vmcnt(1)
	v_fma_f32 v0, -v0, v6, v4
	s_waitcnt vmcnt(0)
	v_div_scale_f32 v4, null, v3, v3, v0
	v_div_scale_f32 v7, vcc_lo, v0, v3, v0
	v_rcp_f32_e32 v5, v4
	v_fma_f32 v6, -v4, v5, 1.0
	v_fmac_f32_e32 v5, v6, v5
	v_mul_f32_e32 v6, v7, v5
	v_fma_f32 v8, -v4, v6, v7
	v_fmac_f32_e32 v6, v8, v5
	v_fma_f32 v4, -v4, v6, v7
	v_div_fmas_f32 v4, v4, v5, v6
	v_div_fixup_f32 v0, v4, v3, v0
	global_store_dword v[11:12], v0, off
	s_cbranch_scc1 .LBB1_18
.LBB1_19:
	s_endpgm
	.section	.rodata,"a",@progbits
	.p2align	6, 0x0
	.amdhsa_kernel _ZN9rocsparseL32gtsv_interleaved_batch_lu_kernelILj128EfEEviiiPT0_S2_S2_S2_PiS2_
		.amdhsa_group_segment_fixed_size 0
		.amdhsa_private_segment_fixed_size 0
		.amdhsa_kernarg_size 64
		.amdhsa_user_sgpr_count 6
		.amdhsa_user_sgpr_private_segment_buffer 1
		.amdhsa_user_sgpr_dispatch_ptr 0
		.amdhsa_user_sgpr_queue_ptr 0
		.amdhsa_user_sgpr_kernarg_segment_ptr 1
		.amdhsa_user_sgpr_dispatch_id 0
		.amdhsa_user_sgpr_flat_scratch_init 0
		.amdhsa_user_sgpr_private_segment_size 0
		.amdhsa_wavefront_size32 1
		.amdhsa_uses_dynamic_stack 0
		.amdhsa_system_sgpr_private_segment_wavefront_offset 0
		.amdhsa_system_sgpr_workgroup_id_x 1
		.amdhsa_system_sgpr_workgroup_id_y 0
		.amdhsa_system_sgpr_workgroup_id_z 0
		.amdhsa_system_sgpr_workgroup_info 0
		.amdhsa_system_vgpr_workitem_id 0
		.amdhsa_next_free_vgpr 35
		.amdhsa_next_free_sgpr 22
		.amdhsa_reserve_vcc 1
		.amdhsa_reserve_flat_scratch 0
		.amdhsa_float_round_mode_32 0
		.amdhsa_float_round_mode_16_64 0
		.amdhsa_float_denorm_mode_32 3
		.amdhsa_float_denorm_mode_16_64 3
		.amdhsa_dx10_clamp 1
		.amdhsa_ieee_mode 1
		.amdhsa_fp16_overflow 0
		.amdhsa_workgroup_processor_mode 1
		.amdhsa_memory_ordered 1
		.amdhsa_forward_progress 1
		.amdhsa_shared_vgpr_count 0
		.amdhsa_exception_fp_ieee_invalid_op 0
		.amdhsa_exception_fp_denorm_src 0
		.amdhsa_exception_fp_ieee_div_zero 0
		.amdhsa_exception_fp_ieee_overflow 0
		.amdhsa_exception_fp_ieee_underflow 0
		.amdhsa_exception_fp_ieee_inexact 0
		.amdhsa_exception_int_div_zero 0
	.end_amdhsa_kernel
	.section	.text._ZN9rocsparseL32gtsv_interleaved_batch_lu_kernelILj128EfEEviiiPT0_S2_S2_S2_PiS2_,"axG",@progbits,_ZN9rocsparseL32gtsv_interleaved_batch_lu_kernelILj128EfEEviiiPT0_S2_S2_S2_PiS2_,comdat
.Lfunc_end1:
	.size	_ZN9rocsparseL32gtsv_interleaved_batch_lu_kernelILj128EfEEviiiPT0_S2_S2_S2_PiS2_, .Lfunc_end1-_ZN9rocsparseL32gtsv_interleaved_batch_lu_kernelILj128EfEEviiiPT0_S2_S2_S2_PiS2_
                                        ; -- End function
	.set _ZN9rocsparseL32gtsv_interleaved_batch_lu_kernelILj128EfEEviiiPT0_S2_S2_S2_PiS2_.num_vgpr, 35
	.set _ZN9rocsparseL32gtsv_interleaved_batch_lu_kernelILj128EfEEviiiPT0_S2_S2_S2_PiS2_.num_agpr, 0
	.set _ZN9rocsparseL32gtsv_interleaved_batch_lu_kernelILj128EfEEviiiPT0_S2_S2_S2_PiS2_.numbered_sgpr, 22
	.set _ZN9rocsparseL32gtsv_interleaved_batch_lu_kernelILj128EfEEviiiPT0_S2_S2_S2_PiS2_.num_named_barrier, 0
	.set _ZN9rocsparseL32gtsv_interleaved_batch_lu_kernelILj128EfEEviiiPT0_S2_S2_S2_PiS2_.private_seg_size, 0
	.set _ZN9rocsparseL32gtsv_interleaved_batch_lu_kernelILj128EfEEviiiPT0_S2_S2_S2_PiS2_.uses_vcc, 1
	.set _ZN9rocsparseL32gtsv_interleaved_batch_lu_kernelILj128EfEEviiiPT0_S2_S2_S2_PiS2_.uses_flat_scratch, 0
	.set _ZN9rocsparseL32gtsv_interleaved_batch_lu_kernelILj128EfEEviiiPT0_S2_S2_S2_PiS2_.has_dyn_sized_stack, 0
	.set _ZN9rocsparseL32gtsv_interleaved_batch_lu_kernelILj128EfEEviiiPT0_S2_S2_S2_PiS2_.has_recursion, 0
	.set _ZN9rocsparseL32gtsv_interleaved_batch_lu_kernelILj128EfEEviiiPT0_S2_S2_S2_PiS2_.has_indirect_call, 0
	.section	.AMDGPU.csdata,"",@progbits
; Kernel info:
; codeLenInByte = 2052
; TotalNumSgprs: 24
; NumVgprs: 35
; ScratchSize: 0
; MemoryBound: 0
; FloatMode: 240
; IeeeMode: 1
; LDSByteSize: 0 bytes/workgroup (compile time only)
; SGPRBlocks: 0
; VGPRBlocks: 4
; NumSGPRsForWavesPerEU: 24
; NumVGPRsForWavesPerEU: 35
; Occupancy: 16
; WaveLimiterHint : 0
; COMPUTE_PGM_RSRC2:SCRATCH_EN: 0
; COMPUTE_PGM_RSRC2:USER_SGPR: 6
; COMPUTE_PGM_RSRC2:TRAP_HANDLER: 0
; COMPUTE_PGM_RSRC2:TGID_X_EN: 1
; COMPUTE_PGM_RSRC2:TGID_Y_EN: 0
; COMPUTE_PGM_RSRC2:TGID_Z_EN: 0
; COMPUTE_PGM_RSRC2:TIDIG_COMP_CNT: 0
	.section	.text._ZN9rocsparseL32gtsv_interleaved_batch_qr_kernelILj128EfEEviiiPKT0_PS1_S4_S4_S4_,"axG",@progbits,_ZN9rocsparseL32gtsv_interleaved_batch_qr_kernelILj128EfEEviiiPKT0_PS1_S4_S4_S4_,comdat
	.globl	_ZN9rocsparseL32gtsv_interleaved_batch_qr_kernelILj128EfEEviiiPKT0_PS1_S4_S4_S4_ ; -- Begin function _ZN9rocsparseL32gtsv_interleaved_batch_qr_kernelILj128EfEEviiiPKT0_PS1_S4_S4_S4_
	.p2align	8
	.type	_ZN9rocsparseL32gtsv_interleaved_batch_qr_kernelILj128EfEEviiiPKT0_PS1_S4_S4_S4_,@function
_ZN9rocsparseL32gtsv_interleaved_batch_qr_kernelILj128EfEEviiiPKT0_PS1_S4_S4_S4_: ; @_ZN9rocsparseL32gtsv_interleaved_batch_qr_kernelILj128EfEEviiiPKT0_PS1_S4_S4_S4_
; %bb.0:
	s_load_dwordx4 s[16:19], s[4:5], 0x0
	s_lshl_b32 s1, s6, 7
	s_mov_b32 s0, exec_lo
	v_or_b32_e32 v1, s1, v0
	s_waitcnt lgkmcnt(0)
	v_cmpx_gt_i32_e64 s17, v1
	s_cbranch_execz .LBB2_7
; %bb.1:
	s_load_dwordx8 s[8:15], s[4:5], 0x18
	s_add_i32 s6, s16, -1
	s_cmp_lt_i32 s16, 2
	s_cbranch_scc1 .LBB2_4
; %bb.2:
	v_ashrrev_i32_e32 v2, 31, v1
	s_load_dwordx2 s[2:3], s[4:5], 0x10
	s_mov_b32 s4, s6
	v_lshlrev_b64 v[2:3], 2, v[1:2]
	s_waitcnt lgkmcnt(0)
	v_add_co_u32 v4, vcc_lo, s8, v2
	v_add_co_ci_u32_e64 v5, null, s9, v3, vcc_lo
	v_add_co_u32 v7, vcc_lo, s10, v2
	v_add_co_ci_u32_e64 v8, null, s11, v3, vcc_lo
	;; [unrolled: 2-line block ×3, first 2 shown]
	global_load_dword v6, v[4:5], off
	global_load_dword v7, v[7:8], off
	;; [unrolled: 1-line block ×3, first 2 shown]
	v_mov_b32_e32 v4, v1
	v_mov_b32_e32 v2, v1
.LBB2_3:                                ; =>This Inner Loop Header: Depth=1
	v_add_nc_u32_e32 v9, s18, v4
	v_ashrrev_i32_e32 v5, 31, v4
	v_ashrrev_i32_e32 v3, 31, v2
	s_waitcnt vmcnt(2)
	v_mul_f32_e32 v28, v6, v6
	s_add_i32 s4, s4, -1
	v_ashrrev_i32_e32 v10, 31, v9
	v_lshlrev_b64 v[16:17], 2, v[4:5]
	v_lshlrev_b64 v[18:19], 2, v[2:3]
	v_mov_b32_e32 v4, v9
	v_add_nc_u32_e32 v2, s17, v2
	v_lshlrev_b64 v[10:11], 2, v[9:10]
	s_cmp_eq_u32 s4, 0
	v_add_co_u32 v12, vcc_lo, s2, v10
	v_add_co_ci_u32_e64 v13, null, s3, v11, vcc_lo
	global_load_dword v24, v[12:13], off
	v_add_co_u32 v12, vcc_lo, s8, v10
	v_add_co_ci_u32_e64 v13, null, s9, v11, vcc_lo
	v_add_co_u32 v14, vcc_lo, s14, v10
	v_add_co_ci_u32_e64 v15, null, s15, v11, vcc_lo
	;; [unrolled: 2-line block ×3, first 2 shown]
	global_load_dword v25, v[12:13], off
	global_load_dword v26, v[14:15], off
	;; [unrolled: 1-line block ×3, first 2 shown]
	v_add_co_u32 v20, vcc_lo, s8, v16
	v_add_co_ci_u32_e64 v21, null, s9, v17, vcc_lo
	v_add_co_u32 v22, vcc_lo, s10, v16
	v_add_co_ci_u32_e64 v23, null, s11, v17, vcc_lo
	;; [unrolled: 2-line block ×4, first 2 shown]
	s_waitcnt vmcnt(3)
	v_fmac_f32_e32 v28, v24, v24
	v_mul_f32_e32 v3, 0x4f800000, v28
	v_cmp_gt_f32_e32 vcc_lo, 0xf800000, v28
	v_cndmask_b32_e32 v3, v28, v3, vcc_lo
	v_sqrt_f32_e32 v5, v3
	v_add_nc_u32_e32 v9, -1, v5
	v_add_nc_u32_e32 v28, 1, v5
	v_fma_f32 v29, -v9, v5, v3
	v_fma_f32 v30, -v28, v5, v3
	v_cmp_ge_f32_e64 s0, 0, v29
	v_cndmask_b32_e64 v5, v5, v9, s0
	v_cmp_lt_f32_e64 s0, 0, v30
	v_cndmask_b32_e64 v5, v5, v28, s0
	v_mul_f32_e32 v9, 0x37800000, v5
	v_cndmask_b32_e32 v5, v5, v9, vcc_lo
	v_cmp_class_f32_e64 vcc_lo, v3, 0x260
	v_cndmask_b32_e32 v3, v5, v3, vcc_lo
	v_div_scale_f32 v5, null, v3, v3, v6
	v_div_scale_f32 v28, null, v3, v3, v24
	v_div_scale_f32 v9, vcc_lo, v6, v3, v6
	v_rcp_f32_e32 v30, v5
	v_rcp_f32_e32 v31, v28
	v_div_scale_f32 v29, s0, v24, v3, v24
	v_fma_f32 v32, -v5, v30, 1.0
	v_fma_f32 v33, -v28, v31, 1.0
	v_fmac_f32_e32 v30, v32, v30
	v_fmac_f32_e32 v31, v33, v31
	v_mul_f32_e32 v32, v9, v30
	v_mul_f32_e32 v33, v29, v31
	v_fma_f32 v34, -v5, v32, v9
	v_fma_f32 v35, -v28, v33, v29
	v_fmac_f32_e32 v32, v34, v30
	v_fmac_f32_e32 v33, v35, v31
	v_fma_f32 v5, -v5, v32, v9
	v_fma_f32 v9, -v28, v33, v29
	v_div_fmas_f32 v5, v5, v30, v32
	s_mov_b32 vcc_lo, s0
	v_div_fmas_f32 v9, v9, v31, v33
	v_div_fixup_f32 v5, v5, v3, v6
	v_div_fixup_f32 v3, v9, v3, v24
	s_waitcnt vmcnt(2)
	v_mul_f32_e32 v9, v25, v5
	s_waitcnt vmcnt(1)
	v_mul_f32_e32 v28, v5, v26
	v_mul_f32_e32 v24, v24, v3
	;; [unrolled: 1-line block ×4, first 2 shown]
	s_waitcnt vmcnt(0)
	v_mul_f32_e32 v29, v27, v3
	v_fmac_f32_e32 v24, v6, v5
	v_fma_f32 v6, -v7, v3, v9
	v_fmac_f32_e32 v25, v7, v5
	v_mul_f32_e32 v7, v27, v5
	v_fmac_f32_e32 v26, v8, v5
	v_fma_f32 v8, -v8, v3, v28
	global_store_dword v[18:19], v29, off
	global_store_dword v[20:21], v24, off
	;; [unrolled: 1-line block ×7, first 2 shown]
	s_cbranch_scc0 .LBB2_3
.LBB2_4:
	s_mul_i32 s2, s18, s6
	v_add_nc_u32_e32 v2, s2, v1
	s_sub_i32 s0, s2, s18
	s_cmp_lt_i32 s16, 3
	v_ashrrev_i32_e32 v3, 31, v2
	v_lshlrev_b64 v[2:3], 2, v[2:3]
	s_waitcnt lgkmcnt(0)
	v_add_co_u32 v4, vcc_lo, s14, v2
	v_add_co_ci_u32_e64 v5, null, s15, v3, vcc_lo
	v_add_co_u32 v2, vcc_lo, s8, v2
	v_add_co_ci_u32_e64 v3, null, s9, v3, vcc_lo
	global_load_dword v10, v[4:5], off
	global_load_dword v11, v[2:3], off
	s_waitcnt vmcnt(0)
	v_div_scale_f32 v6, null, v11, v11, v10
	v_div_scale_f32 v7, vcc_lo, v10, v11, v10
	v_rcp_f32_e32 v8, v6
	v_fma_f32 v2, -v6, v8, 1.0
	v_fmac_f32_e32 v8, v2, v8
	v_add_nc_u32_e32 v2, s0, v1
	v_mul_f32_e32 v9, v7, v8
	v_ashrrev_i32_e32 v3, 31, v2
	v_fma_f32 v12, -v6, v9, v7
	v_lshlrev_b64 v[2:3], 2, v[2:3]
	v_fmac_f32_e32 v9, v12, v8
	v_fma_f32 v12, -v6, v9, v7
	v_add_co_u32 v6, s0, s14, v2
	v_add_co_ci_u32_e64 v7, null, s15, v3, s0
	v_div_fmas_f32 v12, v12, v8, v9
	v_add_co_u32 v8, vcc_lo, s10, v2
	v_add_co_ci_u32_e64 v9, null, s11, v3, vcc_lo
	v_div_fixup_f32 v10, v12, v11, v10
	v_add_co_u32 v2, vcc_lo, s8, v2
	v_add_co_ci_u32_e64 v3, null, s9, v3, vcc_lo
	global_load_dword v8, v[8:9], off
	global_store_dword v[4:5], v10, off
	global_load_dword v4, v[6:7], off
	global_load_dword v2, v[2:3], off
	s_waitcnt vmcnt(1)
	v_fma_f32 v3, -v10, v8, v4
	s_waitcnt vmcnt(0)
	v_div_scale_f32 v4, null, v2, v2, v3
	v_rcp_f32_e32 v5, v4
	v_fma_f32 v8, -v4, v5, 1.0
	v_fmac_f32_e32 v5, v8, v5
	v_div_scale_f32 v8, vcc_lo, v3, v2, v3
	v_mul_f32_e32 v9, v8, v5
	v_fma_f32 v10, -v4, v9, v8
	v_fmac_f32_e32 v9, v10, v5
	v_fma_f32 v4, -v4, v9, v8
	v_div_fmas_f32 v4, v4, v5, v9
	v_div_fixup_f32 v2, v4, v2, v3
	global_store_dword v[6:7], v2, off
	s_cbranch_scc1 .LBB2_7
; %bb.5:
	s_add_i32 s3, s16, -3
	s_add_i32 s0, s16, -2
	s_mul_i32 s4, s17, s3
	s_mul_i32 s3, s18, s3
	v_add3_u32 v2, s1, s4, v0
	s_mul_i32 s1, s18, s0
.LBB2_6:                                ; =>This Inner Loop Header: Depth=1
	v_add_nc_u32_e32 v4, s3, v1
	v_ashrrev_i32_e32 v3, 31, v2
	v_add_nc_u32_e32 v6, s1, v1
	v_add_nc_u32_e32 v8, s2, v1
	v_subrev_nc_u32_e32 v1, s18, v1
	v_ashrrev_i32_e32 v5, 31, v4
	v_lshlrev_b64 v[10:11], 2, v[2:3]
	v_ashrrev_i32_e32 v7, 31, v6
	v_ashrrev_i32_e32 v9, 31, v8
	v_subrev_nc_u32_e32 v2, s17, v2
	v_lshlrev_b64 v[3:4], 2, v[4:5]
	s_add_i32 s0, s0, -1
	v_lshlrev_b64 v[5:6], 2, v[6:7]
	v_lshlrev_b64 v[7:8], 2, v[8:9]
	v_add_co_u32 v9, vcc_lo, s12, v10
	v_add_co_ci_u32_e64 v10, null, s13, v11, vcc_lo
	v_add_co_u32 v11, vcc_lo, s14, v3
	v_add_co_ci_u32_e64 v12, null, s15, v4, vcc_lo
	v_add_co_u32 v13, vcc_lo, s10, v3
	v_add_co_ci_u32_e64 v14, null, s11, v4, vcc_lo
	v_add_co_u32 v5, vcc_lo, s14, v5
	v_add_co_ci_u32_e64 v6, null, s15, v6, vcc_lo
	v_add_co_u32 v7, vcc_lo, s14, v7
	global_load_dword v0, v[9:10], off
	v_add_co_ci_u32_e64 v8, null, s15, v8, vcc_lo
	global_load_dword v9, v[11:12], off
	global_load_dword v10, v[13:14], off
	;; [unrolled: 1-line block ×3, first 2 shown]
	v_add_co_u32 v3, vcc_lo, s8, v3
	v_add_co_ci_u32_e64 v4, null, s9, v4, vcc_lo
	global_load_dword v6, v[7:8], off
	global_load_dword v3, v[3:4], off
	s_cmp_lg_u32 s0, 0
	s_waitcnt vmcnt(2)
	v_fma_f32 v4, -v10, v5, v9
	s_waitcnt vmcnt(1)
	v_fma_f32 v0, -v0, v6, v4
	s_waitcnt vmcnt(0)
	v_div_scale_f32 v4, null, v3, v3, v0
	v_div_scale_f32 v7, vcc_lo, v0, v3, v0
	v_rcp_f32_e32 v5, v4
	v_fma_f32 v6, -v4, v5, 1.0
	v_fmac_f32_e32 v5, v6, v5
	v_mul_f32_e32 v6, v7, v5
	v_fma_f32 v8, -v4, v6, v7
	v_fmac_f32_e32 v6, v8, v5
	v_fma_f32 v4, -v4, v6, v7
	v_div_fmas_f32 v4, v4, v5, v6
	v_div_fixup_f32 v0, v4, v3, v0
	global_store_dword v[11:12], v0, off
	s_cbranch_scc1 .LBB2_6
.LBB2_7:
	s_endpgm
	.section	.rodata,"a",@progbits
	.p2align	6, 0x0
	.amdhsa_kernel _ZN9rocsparseL32gtsv_interleaved_batch_qr_kernelILj128EfEEviiiPKT0_PS1_S4_S4_S4_
		.amdhsa_group_segment_fixed_size 0
		.amdhsa_private_segment_fixed_size 0
		.amdhsa_kernarg_size 56
		.amdhsa_user_sgpr_count 6
		.amdhsa_user_sgpr_private_segment_buffer 1
		.amdhsa_user_sgpr_dispatch_ptr 0
		.amdhsa_user_sgpr_queue_ptr 0
		.amdhsa_user_sgpr_kernarg_segment_ptr 1
		.amdhsa_user_sgpr_dispatch_id 0
		.amdhsa_user_sgpr_flat_scratch_init 0
		.amdhsa_user_sgpr_private_segment_size 0
		.amdhsa_wavefront_size32 1
		.amdhsa_uses_dynamic_stack 0
		.amdhsa_system_sgpr_private_segment_wavefront_offset 0
		.amdhsa_system_sgpr_workgroup_id_x 1
		.amdhsa_system_sgpr_workgroup_id_y 0
		.amdhsa_system_sgpr_workgroup_id_z 0
		.amdhsa_system_sgpr_workgroup_info 0
		.amdhsa_system_vgpr_workitem_id 0
		.amdhsa_next_free_vgpr 36
		.amdhsa_next_free_sgpr 20
		.amdhsa_reserve_vcc 1
		.amdhsa_reserve_flat_scratch 0
		.amdhsa_float_round_mode_32 0
		.amdhsa_float_round_mode_16_64 0
		.amdhsa_float_denorm_mode_32 3
		.amdhsa_float_denorm_mode_16_64 3
		.amdhsa_dx10_clamp 1
		.amdhsa_ieee_mode 1
		.amdhsa_fp16_overflow 0
		.amdhsa_workgroup_processor_mode 1
		.amdhsa_memory_ordered 1
		.amdhsa_forward_progress 1
		.amdhsa_shared_vgpr_count 0
		.amdhsa_exception_fp_ieee_invalid_op 0
		.amdhsa_exception_fp_denorm_src 0
		.amdhsa_exception_fp_ieee_div_zero 0
		.amdhsa_exception_fp_ieee_overflow 0
		.amdhsa_exception_fp_ieee_underflow 0
		.amdhsa_exception_fp_ieee_inexact 0
		.amdhsa_exception_int_div_zero 0
	.end_amdhsa_kernel
	.section	.text._ZN9rocsparseL32gtsv_interleaved_batch_qr_kernelILj128EfEEviiiPKT0_PS1_S4_S4_S4_,"axG",@progbits,_ZN9rocsparseL32gtsv_interleaved_batch_qr_kernelILj128EfEEviiiPKT0_PS1_S4_S4_S4_,comdat
.Lfunc_end2:
	.size	_ZN9rocsparseL32gtsv_interleaved_batch_qr_kernelILj128EfEEviiiPKT0_PS1_S4_S4_S4_, .Lfunc_end2-_ZN9rocsparseL32gtsv_interleaved_batch_qr_kernelILj128EfEEviiiPKT0_PS1_S4_S4_S4_
                                        ; -- End function
	.set _ZN9rocsparseL32gtsv_interleaved_batch_qr_kernelILj128EfEEviiiPKT0_PS1_S4_S4_S4_.num_vgpr, 36
	.set _ZN9rocsparseL32gtsv_interleaved_batch_qr_kernelILj128EfEEviiiPKT0_PS1_S4_S4_S4_.num_agpr, 0
	.set _ZN9rocsparseL32gtsv_interleaved_batch_qr_kernelILj128EfEEviiiPKT0_PS1_S4_S4_S4_.numbered_sgpr, 20
	.set _ZN9rocsparseL32gtsv_interleaved_batch_qr_kernelILj128EfEEviiiPKT0_PS1_S4_S4_S4_.num_named_barrier, 0
	.set _ZN9rocsparseL32gtsv_interleaved_batch_qr_kernelILj128EfEEviiiPKT0_PS1_S4_S4_S4_.private_seg_size, 0
	.set _ZN9rocsparseL32gtsv_interleaved_batch_qr_kernelILj128EfEEviiiPKT0_PS1_S4_S4_S4_.uses_vcc, 1
	.set _ZN9rocsparseL32gtsv_interleaved_batch_qr_kernelILj128EfEEviiiPKT0_PS1_S4_S4_S4_.uses_flat_scratch, 0
	.set _ZN9rocsparseL32gtsv_interleaved_batch_qr_kernelILj128EfEEviiiPKT0_PS1_S4_S4_S4_.has_dyn_sized_stack, 0
	.set _ZN9rocsparseL32gtsv_interleaved_batch_qr_kernelILj128EfEEviiiPKT0_PS1_S4_S4_S4_.has_recursion, 0
	.set _ZN9rocsparseL32gtsv_interleaved_batch_qr_kernelILj128EfEEviiiPKT0_PS1_S4_S4_S4_.has_indirect_call, 0
	.section	.AMDGPU.csdata,"",@progbits
; Kernel info:
; codeLenInByte = 1496
; TotalNumSgprs: 22
; NumVgprs: 36
; ScratchSize: 0
; MemoryBound: 0
; FloatMode: 240
; IeeeMode: 1
; LDSByteSize: 0 bytes/workgroup (compile time only)
; SGPRBlocks: 0
; VGPRBlocks: 4
; NumSGPRsForWavesPerEU: 22
; NumVGPRsForWavesPerEU: 36
; Occupancy: 16
; WaveLimiterHint : 0
; COMPUTE_PGM_RSRC2:SCRATCH_EN: 0
; COMPUTE_PGM_RSRC2:USER_SGPR: 6
; COMPUTE_PGM_RSRC2:TRAP_HANDLER: 0
; COMPUTE_PGM_RSRC2:TGID_X_EN: 1
; COMPUTE_PGM_RSRC2:TGID_Y_EN: 0
; COMPUTE_PGM_RSRC2:TGID_Z_EN: 0
; COMPUTE_PGM_RSRC2:TIDIG_COMP_CNT: 0
	.section	.text._ZN9rocsparseL36gtsv_interleaved_batch_thomas_kernelILj128EdEEviiiPKT0_S3_S3_PS1_S4_S4_,"axG",@progbits,_ZN9rocsparseL36gtsv_interleaved_batch_thomas_kernelILj128EdEEviiiPKT0_S3_S3_PS1_S4_S4_,comdat
	.globl	_ZN9rocsparseL36gtsv_interleaved_batch_thomas_kernelILj128EdEEviiiPKT0_S3_S3_PS1_S4_S4_ ; -- Begin function _ZN9rocsparseL36gtsv_interleaved_batch_thomas_kernelILj128EdEEviiiPKT0_S3_S3_PS1_S4_S4_
	.p2align	8
	.type	_ZN9rocsparseL36gtsv_interleaved_batch_thomas_kernelILj128EdEEviiiPKT0_S3_S3_PS1_S4_S4_,@function
_ZN9rocsparseL36gtsv_interleaved_batch_thomas_kernelILj128EdEEviiiPKT0_S3_S3_PS1_S4_S4_: ; @_ZN9rocsparseL36gtsv_interleaved_batch_thomas_kernelILj128EdEEviiiPKT0_S3_S3_PS1_S4_S4_
; %bb.0:
	s_load_dwordx4 s[16:19], s[4:5], 0x0
	s_lshl_b32 s6, s6, 7
	s_mov_b32 s0, exec_lo
	v_or_b32_e32 v1, s6, v0
	s_waitcnt lgkmcnt(0)
	v_cmpx_gt_i32_e64 s17, v1
	s_cbranch_execz .LBB3_9
; %bb.1:
	s_clause 0x1
	s_load_dwordx8 s[8:15], s[4:5], 0x18
	s_load_dwordx2 s[2:3], s[4:5], 0x38
	v_ashrrev_i32_e32 v2, 31, v1
	s_cmp_gt_i32 s16, 1
	s_cselect_b32 s22, -1, 0
	v_lshlrev_b64 v[8:9], 3, v[1:2]
	s_waitcnt lgkmcnt(0)
	v_add_co_u32 v3, vcc_lo, s10, v8
	v_add_co_ci_u32_e64 v4, null, s11, v9, vcc_lo
	v_add_co_u32 v5, vcc_lo, s8, v8
	v_add_co_ci_u32_e64 v6, null, s9, v9, vcc_lo
	;; [unrolled: 2-line block ×3, first 2 shown]
	global_load_dwordx2 v[3:4], v[3:4], off
	global_load_dwordx2 v[5:6], v[5:6], off
	;; [unrolled: 1-line block ×3, first 2 shown]
	s_waitcnt vmcnt(1)
	v_div_scale_f64 v[12:13], null, v[5:6], v[5:6], v[3:4]
	s_waitcnt vmcnt(0)
	v_div_scale_f64 v[14:15], null, v[5:6], v[5:6], v[10:11]
	v_div_scale_f64 v[24:25], vcc_lo, v[3:4], v[5:6], v[3:4]
	v_rcp_f64_e32 v[16:17], v[12:13]
	v_rcp_f64_e32 v[18:19], v[14:15]
	v_fma_f64 v[20:21], -v[12:13], v[16:17], 1.0
	v_fma_f64 v[22:23], -v[14:15], v[18:19], 1.0
	v_fma_f64 v[16:17], v[16:17], v[20:21], v[16:17]
	v_fma_f64 v[18:19], v[18:19], v[22:23], v[18:19]
	v_fma_f64 v[20:21], -v[12:13], v[16:17], 1.0
	v_fma_f64 v[22:23], -v[14:15], v[18:19], 1.0
	v_fma_f64 v[16:17], v[16:17], v[20:21], v[16:17]
	v_div_scale_f64 v[20:21], s0, v[10:11], v[5:6], v[10:11]
	v_fma_f64 v[18:19], v[18:19], v[22:23], v[18:19]
	v_mul_f64 v[22:23], v[24:25], v[16:17]
	v_mul_f64 v[26:27], v[20:21], v[18:19]
	v_fma_f64 v[12:13], -v[12:13], v[22:23], v[24:25]
	v_fma_f64 v[14:15], -v[14:15], v[26:27], v[20:21]
	v_div_fmas_f64 v[12:13], v[12:13], v[16:17], v[22:23]
	s_mov_b32 vcc_lo, s0
	v_div_fmas_f64 v[14:15], v[14:15], v[18:19], v[26:27]
	v_div_fixup_f64 v[12:13], v[12:13], v[5:6], v[3:4]
	v_add_co_u32 v3, vcc_lo, s12, v8
	v_div_fixup_f64 v[10:11], v[14:15], v[5:6], v[10:11]
	v_add_co_ci_u32_e64 v4, null, s13, v9, vcc_lo
	v_add_co_u32 v5, vcc_lo, s14, v8
	v_add_co_ci_u32_e64 v6, null, s15, v9, vcc_lo
	s_and_b32 vcc_lo, exec_lo, s22
	global_store_dwordx2 v[3:4], v[12:13], off
	global_store_dwordx2 v[5:6], v[10:11], off
	s_cbranch_vccnz .LBB3_3
; %bb.2:
	s_add_i32 s19, s16, -1
	s_cbranch_execz .LBB3_4
	s_branch .LBB3_6
.LBB3_3:
                                        ; implicit-def: $sgpr19
.LBB3_4:
	s_load_dwordx2 s[0:1], s[4:5], 0x10
	s_ashr_i32 s19, s18, 31
	s_ashr_i32 s21, s17, 31
	s_lshl_b64 s[4:5], s[18:19], 3
	s_mov_b32 s20, s17
	v_add_co_u32 v10, vcc_lo, s4, v8
	v_add3_u32 v7, s6, s18, v0
	s_lshl_b64 s[6:7], s[20:21], 3
	v_add_co_ci_u32_e64 v11, null, s5, v9, vcc_lo
	v_add_co_u32 v0, vcc_lo, s6, v8
	v_add_co_ci_u32_e64 v9, null, s7, v9, vcc_lo
	s_add_i32 s19, s16, -1
	s_mov_b32 s20, 0
	s_mov_b32 s23, s19
.LBB3_5:                                ; =>This Inner Loop Header: Depth=1
	v_ashrrev_i32_e32 v8, 31, v7
	s_ashr_i32 s21, s20, 31
	v_add_co_u32 v12, vcc_lo, s8, v10
	s_lshl_b64 s[24:25], s[20:21], 3
	v_lshlrev_b64 v[16:17], 3, v[7:8]
	v_add_co_ci_u32_e64 v13, null, s9, v11, vcc_lo
	v_add_co_u32 v14, vcc_lo, v3, s24
	v_add_co_ci_u32_e64 v15, null, s25, v4, vcc_lo
	s_waitcnt lgkmcnt(0)
	v_add_co_u32 v16, vcc_lo, s0, v16
	v_add_co_ci_u32_e64 v17, null, s1, v17, vcc_lo
	global_load_dwordx2 v[12:13], v[12:13], off
	global_load_dwordx2 v[18:19], v[14:15], off
	;; [unrolled: 1-line block ×3, first 2 shown]
	v_add_co_u32 v20, vcc_lo, s10, v10
	v_add_co_ci_u32_e64 v21, null, s11, v11, vcc_lo
	v_add_nc_u32_e32 v7, s18, v7
	s_add_i32 s23, s23, -1
	s_add_i32 s20, s20, s17
	global_load_dwordx2 v[20:21], v[20:21], off
	s_cmp_eq_u32 s23, 0
	s_waitcnt vmcnt(1)
	v_fma_f64 v[18:19], -v[16:17], v[18:19], v[12:13]
	s_waitcnt vmcnt(0)
	v_div_scale_f64 v[22:23], null, v[18:19], v[18:19], v[20:21]
	v_div_scale_f64 v[28:29], vcc_lo, v[20:21], v[18:19], v[20:21]
	v_rcp_f64_e32 v[24:25], v[22:23]
	v_fma_f64 v[26:27], -v[22:23], v[24:25], 1.0
	v_fma_f64 v[24:25], v[24:25], v[26:27], v[24:25]
	v_fma_f64 v[26:27], -v[22:23], v[24:25], 1.0
	v_fma_f64 v[24:25], v[24:25], v[26:27], v[24:25]
	v_mul_f64 v[26:27], v[28:29], v[24:25]
	v_fma_f64 v[22:23], -v[22:23], v[26:27], v[28:29]
	v_div_fmas_f64 v[22:23], v[22:23], v[24:25], v[26:27]
	v_div_fixup_f64 v[18:19], v[22:23], v[18:19], v[20:21]
	v_add_co_u32 v20, vcc_lo, s2, v10
	v_add_co_ci_u32_e64 v21, null, s3, v11, vcc_lo
	v_add_co_u32 v22, vcc_lo, s12, v0
	v_add_co_ci_u32_e64 v23, null, s13, v9, vcc_lo
	v_add_co_u32 v24, vcc_lo, v5, s24
	v_add_co_ci_u32_e64 v25, null, s25, v6, vcc_lo
	global_load_dwordx2 v[20:21], v[20:21], off
	global_load_dwordx2 v[24:25], v[24:25], off
	global_store_dwordx2 v[22:23], v[18:19], off
	global_load_dwordx2 v[14:15], v[14:15], off
	s_waitcnt vmcnt(1)
	v_fma_f64 v[18:19], -v[16:17], v[24:25], v[20:21]
	s_waitcnt vmcnt(0)
	v_fma_f64 v[12:13], -v[16:17], v[14:15], v[12:13]
	v_div_scale_f64 v[14:15], null, v[12:13], v[12:13], v[18:19]
	v_div_scale_f64 v[22:23], vcc_lo, v[18:19], v[12:13], v[18:19]
	v_rcp_f64_e32 v[16:17], v[14:15]
	v_fma_f64 v[20:21], -v[14:15], v[16:17], 1.0
	v_fma_f64 v[16:17], v[16:17], v[20:21], v[16:17]
	v_fma_f64 v[20:21], -v[14:15], v[16:17], 1.0
	v_fma_f64 v[16:17], v[16:17], v[20:21], v[16:17]
	v_mul_f64 v[20:21], v[22:23], v[16:17]
	v_fma_f64 v[14:15], -v[14:15], v[20:21], v[22:23]
	v_div_fmas_f64 v[14:15], v[14:15], v[16:17], v[20:21]
	v_div_fixup_f64 v[12:13], v[14:15], v[12:13], v[18:19]
	v_add_co_u32 v14, vcc_lo, s14, v0
	v_add_co_ci_u32_e64 v15, null, s15, v9, vcc_lo
	v_add_co_u32 v10, vcc_lo, v10, s4
	v_add_co_ci_u32_e64 v11, null, s5, v11, vcc_lo
	;; [unrolled: 2-line block ×3, first 2 shown]
	global_store_dwordx2 v[14:15], v[12:13], off
	s_cbranch_scc0 .LBB3_5
.LBB3_6:
	s_mul_i32 s0, s17, s19
	s_ashr_i32 s1, s0, 31
	s_lshl_b64 s[0:1], s[0:1], 3
	v_add_co_u32 v7, vcc_lo, v5, s0
	v_add_co_ci_u32_e64 v8, null, s1, v6, vcc_lo
	s_mul_i32 s0, s18, s19
	s_ashr_i32 s1, s0, 31
	global_load_dwordx2 v[7:8], v[7:8], off
	s_lshl_b64 s[2:3], s[0:1], 3
	v_add_co_u32 v9, vcc_lo, v1, s2
	v_add_co_ci_u32_e64 v10, null, s3, v2, vcc_lo
	s_andn2_b32 vcc_lo, exec_lo, s22
	s_waitcnt vmcnt(0)
	global_store_dwordx2 v[9:10], v[7:8], off
	s_cbranch_vccnz .LBB3_9
; %bb.7:
	s_add_i32 s2, s16, -2
	s_mov_b32 s4, 0
	s_mul_i32 s1, s18, s2
	s_mul_i32 s2, s17, s2
	s_inst_prefetch 0x1
	.p2align	6
.LBB3_8:                                ; =>This Inner Loop Header: Depth=1
	s_ashr_i32 s3, s2, 31
	s_add_i32 s6, s0, s4
	s_lshl_b64 s[8:9], s[2:3], 3
	s_ashr_i32 s7, s6, 31
	v_add_co_u32 v7, vcc_lo, v5, s8
	v_add_co_ci_u32_e64 v8, null, s9, v6, vcc_lo
	v_add_co_u32 v9, vcc_lo, v3, s8
	s_lshl_b64 s[6:7], s[6:7], 3
	v_add_co_ci_u32_e64 v10, null, s9, v4, vcc_lo
	v_add_co_u32 v11, vcc_lo, v1, s6
	v_add_co_ci_u32_e64 v12, null, s7, v2, vcc_lo
	global_load_dwordx2 v[7:8], v[7:8], off
	global_load_dwordx2 v[9:10], v[9:10], off
	;; [unrolled: 1-line block ×3, first 2 shown]
	s_add_i32 s6, s1, s4
	s_add_i32 s19, s19, -1
	s_ashr_i32 s7, s6, 31
	s_sub_i32 s4, s4, s18
	s_lshl_b64 s[6:7], s[6:7], 3
	s_sub_i32 s2, s2, s17
	s_cmp_lg_u32 s19, 0
	s_waitcnt vmcnt(0)
	v_fma_f64 v[7:8], -v[9:10], v[11:12], v[7:8]
	v_add_co_u32 v9, vcc_lo, v1, s6
	v_add_co_ci_u32_e64 v10, null, s7, v2, vcc_lo
	global_store_dwordx2 v[9:10], v[7:8], off
	s_cbranch_scc1 .LBB3_8
.LBB3_9:
	s_inst_prefetch 0x2
	s_endpgm
	.section	.rodata,"a",@progbits
	.p2align	6, 0x0
	.amdhsa_kernel _ZN9rocsparseL36gtsv_interleaved_batch_thomas_kernelILj128EdEEviiiPKT0_S3_S3_PS1_S4_S4_
		.amdhsa_group_segment_fixed_size 0
		.amdhsa_private_segment_fixed_size 0
		.amdhsa_kernarg_size 64
		.amdhsa_user_sgpr_count 6
		.amdhsa_user_sgpr_private_segment_buffer 1
		.amdhsa_user_sgpr_dispatch_ptr 0
		.amdhsa_user_sgpr_queue_ptr 0
		.amdhsa_user_sgpr_kernarg_segment_ptr 1
		.amdhsa_user_sgpr_dispatch_id 0
		.amdhsa_user_sgpr_flat_scratch_init 0
		.amdhsa_user_sgpr_private_segment_size 0
		.amdhsa_wavefront_size32 1
		.amdhsa_uses_dynamic_stack 0
		.amdhsa_system_sgpr_private_segment_wavefront_offset 0
		.amdhsa_system_sgpr_workgroup_id_x 1
		.amdhsa_system_sgpr_workgroup_id_y 0
		.amdhsa_system_sgpr_workgroup_id_z 0
		.amdhsa_system_sgpr_workgroup_info 0
		.amdhsa_system_vgpr_workitem_id 0
		.amdhsa_next_free_vgpr 30
		.amdhsa_next_free_sgpr 26
		.amdhsa_reserve_vcc 1
		.amdhsa_reserve_flat_scratch 0
		.amdhsa_float_round_mode_32 0
		.amdhsa_float_round_mode_16_64 0
		.amdhsa_float_denorm_mode_32 3
		.amdhsa_float_denorm_mode_16_64 3
		.amdhsa_dx10_clamp 1
		.amdhsa_ieee_mode 1
		.amdhsa_fp16_overflow 0
		.amdhsa_workgroup_processor_mode 1
		.amdhsa_memory_ordered 1
		.amdhsa_forward_progress 1
		.amdhsa_shared_vgpr_count 0
		.amdhsa_exception_fp_ieee_invalid_op 0
		.amdhsa_exception_fp_denorm_src 0
		.amdhsa_exception_fp_ieee_div_zero 0
		.amdhsa_exception_fp_ieee_overflow 0
		.amdhsa_exception_fp_ieee_underflow 0
		.amdhsa_exception_fp_ieee_inexact 0
		.amdhsa_exception_int_div_zero 0
	.end_amdhsa_kernel
	.section	.text._ZN9rocsparseL36gtsv_interleaved_batch_thomas_kernelILj128EdEEviiiPKT0_S3_S3_PS1_S4_S4_,"axG",@progbits,_ZN9rocsparseL36gtsv_interleaved_batch_thomas_kernelILj128EdEEviiiPKT0_S3_S3_PS1_S4_S4_,comdat
.Lfunc_end3:
	.size	_ZN9rocsparseL36gtsv_interleaved_batch_thomas_kernelILj128EdEEviiiPKT0_S3_S3_PS1_S4_S4_, .Lfunc_end3-_ZN9rocsparseL36gtsv_interleaved_batch_thomas_kernelILj128EdEEviiiPKT0_S3_S3_PS1_S4_S4_
                                        ; -- End function
	.set _ZN9rocsparseL36gtsv_interleaved_batch_thomas_kernelILj128EdEEviiiPKT0_S3_S3_PS1_S4_S4_.num_vgpr, 30
	.set _ZN9rocsparseL36gtsv_interleaved_batch_thomas_kernelILj128EdEEviiiPKT0_S3_S3_PS1_S4_S4_.num_agpr, 0
	.set _ZN9rocsparseL36gtsv_interleaved_batch_thomas_kernelILj128EdEEviiiPKT0_S3_S3_PS1_S4_S4_.numbered_sgpr, 26
	.set _ZN9rocsparseL36gtsv_interleaved_batch_thomas_kernelILj128EdEEviiiPKT0_S3_S3_PS1_S4_S4_.num_named_barrier, 0
	.set _ZN9rocsparseL36gtsv_interleaved_batch_thomas_kernelILj128EdEEviiiPKT0_S3_S3_PS1_S4_S4_.private_seg_size, 0
	.set _ZN9rocsparseL36gtsv_interleaved_batch_thomas_kernelILj128EdEEviiiPKT0_S3_S3_PS1_S4_S4_.uses_vcc, 1
	.set _ZN9rocsparseL36gtsv_interleaved_batch_thomas_kernelILj128EdEEviiiPKT0_S3_S3_PS1_S4_S4_.uses_flat_scratch, 0
	.set _ZN9rocsparseL36gtsv_interleaved_batch_thomas_kernelILj128EdEEviiiPKT0_S3_S3_PS1_S4_S4_.has_dyn_sized_stack, 0
	.set _ZN9rocsparseL36gtsv_interleaved_batch_thomas_kernelILj128EdEEviiiPKT0_S3_S3_PS1_S4_S4_.has_recursion, 0
	.set _ZN9rocsparseL36gtsv_interleaved_batch_thomas_kernelILj128EdEEviiiPKT0_S3_S3_PS1_S4_S4_.has_indirect_call, 0
	.section	.AMDGPU.csdata,"",@progbits
; Kernel info:
; codeLenInByte = 1256
; TotalNumSgprs: 28
; NumVgprs: 30
; ScratchSize: 0
; MemoryBound: 0
; FloatMode: 240
; IeeeMode: 1
; LDSByteSize: 0 bytes/workgroup (compile time only)
; SGPRBlocks: 0
; VGPRBlocks: 3
; NumSGPRsForWavesPerEU: 28
; NumVGPRsForWavesPerEU: 30
; Occupancy: 16
; WaveLimiterHint : 0
; COMPUTE_PGM_RSRC2:SCRATCH_EN: 0
; COMPUTE_PGM_RSRC2:USER_SGPR: 6
; COMPUTE_PGM_RSRC2:TRAP_HANDLER: 0
; COMPUTE_PGM_RSRC2:TGID_X_EN: 1
; COMPUTE_PGM_RSRC2:TGID_Y_EN: 0
; COMPUTE_PGM_RSRC2:TGID_Z_EN: 0
; COMPUTE_PGM_RSRC2:TIDIG_COMP_CNT: 0
	.section	.text._ZN9rocsparseL32gtsv_interleaved_batch_lu_kernelILj128EdEEviiiPT0_S2_S2_S2_PiS2_,"axG",@progbits,_ZN9rocsparseL32gtsv_interleaved_batch_lu_kernelILj128EdEEviiiPT0_S2_S2_S2_PiS2_,comdat
	.globl	_ZN9rocsparseL32gtsv_interleaved_batch_lu_kernelILj128EdEEviiiPT0_S2_S2_S2_PiS2_ ; -- Begin function _ZN9rocsparseL32gtsv_interleaved_batch_lu_kernelILj128EdEEviiiPT0_S2_S2_S2_PiS2_
	.p2align	8
	.type	_ZN9rocsparseL32gtsv_interleaved_batch_lu_kernelILj128EdEEviiiPT0_S2_S2_S2_PiS2_,@function
_ZN9rocsparseL32gtsv_interleaved_batch_lu_kernelILj128EdEEviiiPT0_S2_S2_S2_PiS2_: ; @_ZN9rocsparseL32gtsv_interleaved_batch_lu_kernelILj128EdEEviiiPT0_S2_S2_S2_PiS2_
; %bb.0:
	s_load_dwordx4 s[0:3], s[4:5], 0x0
	s_waitcnt lgkmcnt(0)
	s_lshl_b32 s3, s6, 7
	s_mov_b32 s6, exec_lo
	v_or_b32_e32 v1, s3, v0
	v_cmpx_gt_i32_e64 s1, v1
	s_cbranch_execz .LBB4_19
; %bb.1:
	s_clause 0x1
	s_load_dwordx8 s[8:15], s[4:5], 0x18
	s_load_dwordx2 s[6:7], s[4:5], 0x38
	v_ashrrev_i32_e32 v2, 31, v1
	v_mov_b32_e32 v4, 0
	s_add_i32 s16, s0, -1
	s_cmp_lt_i32 s0, 2
	v_lshlrev_b64 v[2:3], 2, v[1:2]
	s_waitcnt lgkmcnt(0)
	v_add_co_u32 v2, vcc_lo, s14, v2
	v_add_co_ci_u32_e64 v3, null, s15, v3, vcc_lo
	global_store_dword v[2:3], v4, off
	s_cbranch_scc1 .LBB4_16
; %bb.2:
	s_load_dwordx2 s[4:5], s[4:5], 0x10
	s_mov_b32 s18, 0
	s_branch .LBB4_4
.LBB4_3:                                ;   in Loop: Header=BB4_4 Depth=1
	s_or_b32 exec_lo, exec_lo, s19
	s_cmp_lg_u32 s17, s16
	s_mov_b32 s18, s17
	s_cbranch_scc0 .LBB4_8
.LBB4_4:                                ; =>This Inner Loop Header: Depth=1
	v_mad_u64_u32 v[4:5], null, s18, s2, v[1:2]
	s_add_i32 s17, s18, 1
	v_add_nc_u32_e32 v6, s2, v4
	v_ashrrev_i32_e32 v5, 31, v4
	v_ashrrev_i32_e32 v7, 31, v6
	v_lshlrev_b64 v[12:13], 3, v[4:5]
	v_lshlrev_b64 v[10:11], 3, v[6:7]
	s_waitcnt lgkmcnt(0)
	v_add_co_u32 v4, vcc_lo, s4, v10
	v_add_co_ci_u32_e64 v5, null, s5, v11, vcc_lo
	v_add_co_u32 v14, vcc_lo, s8, v12
	v_add_co_ci_u32_e64 v15, null, s9, v13, vcc_lo
	global_load_dwordx2 v[6:7], v[4:5], off
	global_load_dwordx2 v[8:9], v[14:15], off
	s_waitcnt vmcnt(0)
	v_cmp_nlt_f64_e64 s19, |v[8:9]|, |v[6:7]|
	s_and_saveexec_b32 s20, s19
	s_xor_b32 s19, exec_lo, s20
	s_cbranch_execnz .LBB4_6
; %bb.5:                                ;   in Loop: Header=BB4_4 Depth=1
	s_andn2_saveexec_b32 s19, s19
	s_cbranch_execz .LBB4_3
	s_branch .LBB4_7
.LBB4_6:                                ;   in Loop: Header=BB4_4 Depth=1
	v_mad_u64_u32 v[14:15], null, s18, s1, v[1:2]
	v_add_co_u32 v16, vcc_lo, s8, v10
	v_add_co_ci_u32_e64 v17, null, s9, v11, vcc_lo
	v_add_co_u32 v12, vcc_lo, s10, v12
	v_ashrrev_i32_e32 v15, 31, v14
	v_add_co_ci_u32_e64 v13, null, s11, v13, vcc_lo
	v_add_co_u32 v10, vcc_lo, s10, v10
	v_lshlrev_b64 v[14:15], 3, v[14:15]
	v_add_co_ci_u32_e64 v11, null, s11, v11, vcc_lo
	v_div_scale_f64 v[22:23], null, v[8:9], v[8:9], v[6:7]
	s_mul_i32 s20, s17, s1
	v_add_co_u32 v14, vcc_lo, s12, v14
	v_add_co_ci_u32_e64 v15, null, s13, v15, vcc_lo
	global_load_dwordx2 v[18:19], v[16:17], off
	s_clause 0x1
	global_load_dwordx2 v[12:13], v[12:13], off
	global_load_dwordx2 v[20:21], v[10:11], off
	global_load_dwordx2 v[14:15], v[14:15], off
	s_ashr_i32 s21, s20, 31
	s_lshl_b64 s[20:21], s[20:21], 2
	v_rcp_f64_e32 v[24:25], v[22:23]
	v_fma_f64 v[26:27], -v[22:23], v[24:25], 1.0
	v_fma_f64 v[24:25], v[24:25], v[26:27], v[24:25]
	v_fma_f64 v[26:27], -v[22:23], v[24:25], 1.0
	v_fma_f64 v[24:25], v[24:25], v[26:27], v[24:25]
	v_div_scale_f64 v[26:27], vcc_lo, v[6:7], v[8:9], v[6:7]
	v_mul_f64 v[28:29], v[26:27], v[24:25]
	v_fma_f64 v[22:23], -v[22:23], v[28:29], v[26:27]
	v_div_fmas_f64 v[22:23], v[22:23], v[24:25], v[28:29]
	v_div_fixup_f64 v[6:7], v[22:23], v[8:9], v[6:7]
	s_waitcnt vmcnt(2)
	v_fma_f64 v[8:9], -v[6:7], v[12:13], v[18:19]
	v_mov_b32_e32 v18, s17
	s_waitcnt vmcnt(0)
	v_fma_f64 v[12:13], -v[6:7], v[14:15], v[20:21]
	v_add_co_u32 v14, vcc_lo, v2, s20
	v_add_co_ci_u32_e64 v15, null, s21, v3, vcc_lo
	global_store_dword v[14:15], v18, off
	global_store_dwordx2 v[4:5], v[6:7], off
	global_store_dwordx2 v[16:17], v[8:9], off
	;; [unrolled: 1-line block ×3, first 2 shown]
                                        ; implicit-def: $vgpr10_vgpr11
                                        ; implicit-def: $vgpr12_vgpr13
                                        ; implicit-def: $vgpr14_vgpr15
                                        ; implicit-def: $vgpr6_vgpr7
                                        ; implicit-def: $vgpr8_vgpr9
                                        ; implicit-def: $vgpr4_vgpr5
	s_andn2_saveexec_b32 s19, s19
	s_cbranch_execz .LBB4_3
.LBB4_7:                                ;   in Loop: Header=BB4_4 Depth=1
	s_mul_i32 s20, s18, s1
	v_add_co_u32 v19, vcc_lo, s8, v10
	v_add_nc_u32_e32 v16, s20, v1
	v_add_co_ci_u32_e64 v20, null, s9, v11, vcc_lo
	s_ashr_i32 s21, s20, 31
	v_div_scale_f64 v[37:38], null, v[6:7], v[6:7], v[8:9]
	v_ashrrev_i32_e32 v17, 31, v16
	s_lshl_b64 s[20:21], s[20:21], 2
	v_lshlrev_b64 v[17:18], 3, v[16:17]
	v_add_co_u32 v17, vcc_lo, s12, v17
	v_add_co_ci_u32_e64 v18, null, s13, v18, vcc_lo
	global_load_dwordx2 v[21:22], v[19:20], off
	global_load_dwordx2 v[23:24], v[17:18], off
	v_add_co_u32 v25, vcc_lo, s10, v12
	v_add_co_ci_u32_e64 v26, null, s11, v13, vcc_lo
	v_add_co_u32 v27, vcc_lo, s10, v10
	v_add_co_ci_u32_e64 v28, null, s11, v11, vcc_lo
	s_clause 0x1
	global_load_dwordx2 v[29:30], v[25:26], off
	global_load_dwordx2 v[31:32], v[27:28], off
	v_add_co_u32 v12, vcc_lo, s6, v12
	v_add_co_ci_u32_e64 v13, null, s7, v13, vcc_lo
	v_add_co_u32 v10, vcc_lo, s6, v10
	v_add_co_ci_u32_e64 v11, null, s7, v11, vcc_lo
	v_rcp_f64_e32 v[39:40], v[37:38]
	s_waitcnt vmcnt(3)
	global_store_dwordx2 v[25:26], v[21:22], off
	s_waitcnt vmcnt(2)
	global_store_dwordx2 v[27:28], v[23:24], off
	global_load_dwordx2 v[21:22], v[25:26], off
	v_add_co_u32 v25, vcc_lo, v2, s20
	v_add_co_ci_u32_e64 v26, null, s21, v3, vcc_lo
	s_clause 0x1
	global_load_dwordx2 v[33:34], v[10:11], off
	global_load_dwordx2 v[35:36], v[12:13], off
	global_load_dword v45, v[25:26], off
	v_fma_f64 v[41:42], -v[37:38], v[39:40], 1.0
	v_div_scale_f64 v[43:44], vcc_lo, v[8:9], v[6:7], v[8:9]
	v_fma_f64 v[39:40], v[39:40], v[41:42], v[39:40]
	v_fma_f64 v[41:42], -v[37:38], v[39:40], 1.0
	v_fma_f64 v[39:40], v[39:40], v[41:42], v[39:40]
	v_mul_f64 v[41:42], v[43:44], v[39:40]
	v_fma_f64 v[37:38], -v[37:38], v[41:42], v[43:44]
	v_div_fmas_f64 v[37:38], v[37:38], v[39:40], v[41:42]
	v_div_fixup_f64 v[8:9], v[37:38], v[6:7], v[8:9]
	v_add_nc_u32_e32 v37, s1, v16
	v_mov_b32_e32 v16, s17
	global_store_dwordx2 v[14:15], v[6:7], off
	global_store_dword v[25:26], v16, off
	v_ashrrev_i32_e32 v38, 31, v37
	s_waitcnt vmcnt(4)
	v_fma_f64 v[23:24], -v[8:9], v[31:32], v[23:24]
	s_waitcnt vmcnt(3)
	v_fma_f64 v[21:22], -v[8:9], v[21:22], v[29:30]
	v_lshlrev_b64 v[29:30], 2, v[37:38]
	v_add_co_u32 v6, vcc_lo, s14, v29
	v_add_co_ci_u32_e64 v7, null, s15, v30, vcc_lo
	global_store_dwordx2 v[4:5], v[8:9], off
	global_store_dwordx2 v[17:18], v[31:32], off
	s_waitcnt vmcnt(2)
	global_store_dwordx2 v[12:13], v[33:34], off
	s_waitcnt vmcnt(1)
	;; [unrolled: 2-line block ×3, first 2 shown]
	global_store_dword v[6:7], v45, off
	global_store_dwordx2 v[19:20], v[21:22], off
	global_store_dwordx2 v[27:28], v[23:24], off
	s_branch .LBB4_3
.LBB4_8:
	v_mov_b32_e32 v6, 0
	s_mov_b32 s14, 1
	s_branch .LBB4_11
.LBB4_9:                                ;   in Loop: Header=BB4_11 Depth=1
	s_or_b32 exec_lo, exec_lo, s17
	v_mad_u64_u32 v[6:7], null, s14, s2, v[1:2]
	v_ashrrev_i32_e32 v7, 31, v6
	v_lshlrev_b64 v[6:7], 3, v[6:7]
	v_add_co_u32 v8, vcc_lo, s6, v6
	v_add_co_ci_u32_e64 v9, null, s7, v7, vcc_lo
	global_load_dwordx2 v[6:7], v[8:9], off
	s_waitcnt vmcnt(0)
	v_add_f64 v[4:5], v[4:5], v[6:7]
	v_mov_b32_e32 v6, s14
	global_store_dwordx2 v[8:9], v[4:5], off
.LBB4_10:                               ;   in Loop: Header=BB4_11 Depth=1
	s_or_b32 exec_lo, exec_lo, s15
	s_add_i32 s14, s14, 1
	s_cmp_eq_u32 s14, s0
	s_cbranch_scc1 .LBB4_16
.LBB4_11:                               ; =>This Loop Header: Depth=1
                                        ;     Child Loop BB4_14 Depth 2
	s_mul_i32 s18, s14, s1
	s_mov_b32 s15, exec_lo
	s_ashr_i32 s19, s18, 31
	s_lshl_b64 s[18:19], s[18:19], 2
	v_add_co_u32 v4, vcc_lo, v2, s18
	v_add_co_ci_u32_e64 v5, null, s19, v3, vcc_lo
	global_load_dword v4, v[4:5], off
	s_waitcnt vmcnt(0)
	v_cmpx_ge_i32_e64 s14, v4
	s_cbranch_execz .LBB4_10
; %bb.12:                               ;   in Loop: Header=BB4_11 Depth=1
	v_mov_b32_e32 v4, 0
	v_mov_b32_e32 v5, 0
	s_mov_b32 s17, exec_lo
	v_cmpx_gt_u32_e64 s14, v6
	s_cbranch_execz .LBB4_9
; %bb.13:                               ;   in Loop: Header=BB4_11 Depth=1
	v_mul_lo_u32 v7, s2, v6
	v_mov_b32_e32 v4, 0
	v_mov_b32_e32 v5, 0
	;; [unrolled: 1-line block ×3, first 2 shown]
	s_mov_b32 s18, 0
	v_add_nc_u32_e32 v8, s2, v7
	.p2align	6
.LBB4_14:                               ;   Parent Loop BB4_11 Depth=1
                                        ; =>  This Inner Loop Header: Depth=2
	v_add_nc_u32_e32 v10, v8, v9
	v_add_nc_u32_e32 v12, v7, v9
	v_add_nc_u32_e32 v6, 1, v6
	v_add_nc_u32_e32 v9, s2, v9
	v_ashrrev_i32_e32 v11, 31, v10
	v_ashrrev_i32_e32 v13, 31, v12
	v_lshlrev_b64 v[10:11], 3, v[10:11]
	v_lshlrev_b64 v[12:13], 3, v[12:13]
	v_add_co_u32 v10, vcc_lo, s4, v10
	v_add_co_ci_u32_e64 v11, null, s5, v11, vcc_lo
	v_add_co_u32 v12, vcc_lo, s6, v12
	v_add_co_ci_u32_e64 v13, null, s7, v13, vcc_lo
	global_load_dwordx2 v[10:11], v[10:11], off
	global_load_dwordx2 v[12:13], v[12:13], off
	v_cmp_le_u32_e32 vcc_lo, s14, v6
	s_or_b32 s18, vcc_lo, s18
	s_waitcnt vmcnt(0)
	v_fma_f64 v[4:5], -v[10:11], v[12:13], v[4:5]
	s_andn2_b32 exec_lo, exec_lo, s18
	s_cbranch_execnz .LBB4_14
; %bb.15:                               ;   in Loop: Header=BB4_11 Depth=1
	s_or_b32 exec_lo, exec_lo, s18
	s_branch .LBB4_9
.LBB4_16:
	s_mul_i32 s4, s2, s16
	v_add_nc_u32_e32 v2, s4, v1
	s_sub_i32 s5, s4, s2
	s_cmp_lt_i32 s0, 3
	v_ashrrev_i32_e32 v3, 31, v2
	v_lshlrev_b64 v[2:3], 3, v[2:3]
	v_add_co_u32 v4, vcc_lo, s6, v2
	v_add_co_ci_u32_e64 v5, null, s7, v3, vcc_lo
	v_add_co_u32 v2, vcc_lo, s8, v2
	v_add_co_ci_u32_e64 v3, null, s9, v3, vcc_lo
	global_load_dwordx2 v[6:7], v[4:5], off
	global_load_dwordx2 v[2:3], v[2:3], off
	s_waitcnt vmcnt(0)
	v_div_scale_f64 v[8:9], null, v[2:3], v[2:3], v[6:7]
	v_div_scale_f64 v[14:15], vcc_lo, v[6:7], v[2:3], v[6:7]
	v_rcp_f64_e32 v[10:11], v[8:9]
	v_fma_f64 v[12:13], -v[8:9], v[10:11], 1.0
	v_fma_f64 v[10:11], v[10:11], v[12:13], v[10:11]
	v_fma_f64 v[12:13], -v[8:9], v[10:11], 1.0
	v_fma_f64 v[10:11], v[10:11], v[12:13], v[10:11]
	v_mul_f64 v[12:13], v[14:15], v[10:11]
	v_fma_f64 v[8:9], -v[8:9], v[12:13], v[14:15]
	v_div_fmas_f64 v[8:9], v[8:9], v[10:11], v[12:13]
	v_add_nc_u32_e32 v10, s5, v1
	v_ashrrev_i32_e32 v11, 31, v10
	v_div_fixup_f64 v[2:3], v[8:9], v[2:3], v[6:7]
	v_lshlrev_b64 v[6:7], 3, v[10:11]
	v_add_co_u32 v8, vcc_lo, s10, v6
	v_add_co_ci_u32_e64 v9, null, s11, v7, vcc_lo
	v_add_co_u32 v10, vcc_lo, s6, v6
	v_add_co_ci_u32_e64 v11, null, s7, v7, vcc_lo
	global_load_dwordx2 v[8:9], v[8:9], off
	v_add_co_u32 v6, vcc_lo, s8, v6
	v_add_co_ci_u32_e64 v7, null, s9, v7, vcc_lo
	global_store_dwordx2 v[4:5], v[2:3], off
	global_load_dwordx2 v[4:5], v[10:11], off
	global_load_dwordx2 v[6:7], v[6:7], off
	s_waitcnt vmcnt(1)
	v_fma_f64 v[2:3], -v[2:3], v[8:9], v[4:5]
	s_waitcnt vmcnt(0)
	v_div_scale_f64 v[4:5], null, v[6:7], v[6:7], v[2:3]
	v_rcp_f64_e32 v[8:9], v[4:5]
	v_fma_f64 v[12:13], -v[4:5], v[8:9], 1.0
	v_fma_f64 v[8:9], v[8:9], v[12:13], v[8:9]
	v_fma_f64 v[12:13], -v[4:5], v[8:9], 1.0
	v_fma_f64 v[8:9], v[8:9], v[12:13], v[8:9]
	v_div_scale_f64 v[12:13], vcc_lo, v[2:3], v[6:7], v[2:3]
	v_mul_f64 v[14:15], v[12:13], v[8:9]
	v_fma_f64 v[4:5], -v[4:5], v[14:15], v[12:13]
	v_div_fmas_f64 v[4:5], v[4:5], v[8:9], v[14:15]
	v_div_fixup_f64 v[2:3], v[4:5], v[6:7], v[2:3]
	global_store_dwordx2 v[10:11], v[2:3], off
	s_cbranch_scc1 .LBB4_19
; %bb.17:
	s_add_i32 s5, s0, -3
	s_add_i32 s0, s0, -2
	s_mul_i32 s14, s1, s5
	s_mul_i32 s5, s2, s5
	v_add3_u32 v2, s3, s14, v0
	s_mul_i32 s3, s2, s0
.LBB4_18:                               ; =>This Inner Loop Header: Depth=1
	v_add_nc_u32_e32 v3, s5, v1
	v_add_nc_u32_e32 v5, s3, v1
	;; [unrolled: 1-line block ×3, first 2 shown]
	v_subrev_nc_u32_e32 v1, s2, v1
	s_add_i32 s0, s0, -1
	v_ashrrev_i32_e32 v4, 31, v3
	v_ashrrev_i32_e32 v6, 31, v5
	;; [unrolled: 1-line block ×3, first 2 shown]
	s_cmp_lg_u32 s0, 0
	v_lshlrev_b64 v[7:8], 3, v[3:4]
	v_lshlrev_b64 v[3:4], 3, v[5:6]
	;; [unrolled: 1-line block ×3, first 2 shown]
	v_add_co_u32 v5, vcc_lo, s6, v7
	v_add_co_ci_u32_e64 v6, null, s7, v8, vcc_lo
	v_add_co_u32 v9, vcc_lo, s10, v7
	v_add_co_ci_u32_e64 v10, null, s11, v8, vcc_lo
	;; [unrolled: 2-line block ×3, first 2 shown]
	global_load_dwordx2 v[13:14], v[5:6], off
	global_load_dwordx2 v[9:10], v[9:10], off
	;; [unrolled: 1-line block ×3, first 2 shown]
	v_ashrrev_i32_e32 v3, 31, v2
	v_lshlrev_b64 v[3:4], 3, v[2:3]
	v_subrev_nc_u32_e32 v2, s1, v2
	v_add_co_u32 v3, vcc_lo, s12, v3
	v_add_co_ci_u32_e64 v4, null, s13, v4, vcc_lo
	v_add_co_u32 v11, vcc_lo, s6, v11
	v_add_co_ci_u32_e64 v12, null, s7, v12, vcc_lo
	global_load_dwordx2 v[3:4], v[3:4], off
	global_load_dwordx2 v[11:12], v[11:12], off
	v_add_co_u32 v7, vcc_lo, s8, v7
	v_add_co_ci_u32_e64 v8, null, s9, v8, vcc_lo
	global_load_dwordx2 v[7:8], v[7:8], off
	s_waitcnt vmcnt(3)
	v_fma_f64 v[9:10], -v[9:10], v[15:16], v[13:14]
	s_waitcnt vmcnt(1)
	v_fma_f64 v[3:4], -v[3:4], v[11:12], v[9:10]
	s_waitcnt vmcnt(0)
	v_div_scale_f64 v[9:10], null, v[7:8], v[7:8], v[3:4]
	v_div_scale_f64 v[15:16], vcc_lo, v[3:4], v[7:8], v[3:4]
	v_rcp_f64_e32 v[11:12], v[9:10]
	v_fma_f64 v[13:14], -v[9:10], v[11:12], 1.0
	v_fma_f64 v[11:12], v[11:12], v[13:14], v[11:12]
	v_fma_f64 v[13:14], -v[9:10], v[11:12], 1.0
	v_fma_f64 v[11:12], v[11:12], v[13:14], v[11:12]
	v_mul_f64 v[13:14], v[15:16], v[11:12]
	v_fma_f64 v[9:10], -v[9:10], v[13:14], v[15:16]
	v_div_fmas_f64 v[9:10], v[9:10], v[11:12], v[13:14]
	v_div_fixup_f64 v[3:4], v[9:10], v[7:8], v[3:4]
	global_store_dwordx2 v[5:6], v[3:4], off
	s_cbranch_scc1 .LBB4_18
.LBB4_19:
	s_endpgm
	.section	.rodata,"a",@progbits
	.p2align	6, 0x0
	.amdhsa_kernel _ZN9rocsparseL32gtsv_interleaved_batch_lu_kernelILj128EdEEviiiPT0_S2_S2_S2_PiS2_
		.amdhsa_group_segment_fixed_size 0
		.amdhsa_private_segment_fixed_size 0
		.amdhsa_kernarg_size 64
		.amdhsa_user_sgpr_count 6
		.amdhsa_user_sgpr_private_segment_buffer 1
		.amdhsa_user_sgpr_dispatch_ptr 0
		.amdhsa_user_sgpr_queue_ptr 0
		.amdhsa_user_sgpr_kernarg_segment_ptr 1
		.amdhsa_user_sgpr_dispatch_id 0
		.amdhsa_user_sgpr_flat_scratch_init 0
		.amdhsa_user_sgpr_private_segment_size 0
		.amdhsa_wavefront_size32 1
		.amdhsa_uses_dynamic_stack 0
		.amdhsa_system_sgpr_private_segment_wavefront_offset 0
		.amdhsa_system_sgpr_workgroup_id_x 1
		.amdhsa_system_sgpr_workgroup_id_y 0
		.amdhsa_system_sgpr_workgroup_id_z 0
		.amdhsa_system_sgpr_workgroup_info 0
		.amdhsa_system_vgpr_workitem_id 0
		.amdhsa_next_free_vgpr 46
		.amdhsa_next_free_sgpr 22
		.amdhsa_reserve_vcc 1
		.amdhsa_reserve_flat_scratch 0
		.amdhsa_float_round_mode_32 0
		.amdhsa_float_round_mode_16_64 0
		.amdhsa_float_denorm_mode_32 3
		.amdhsa_float_denorm_mode_16_64 3
		.amdhsa_dx10_clamp 1
		.amdhsa_ieee_mode 1
		.amdhsa_fp16_overflow 0
		.amdhsa_workgroup_processor_mode 1
		.amdhsa_memory_ordered 1
		.amdhsa_forward_progress 1
		.amdhsa_shared_vgpr_count 0
		.amdhsa_exception_fp_ieee_invalid_op 0
		.amdhsa_exception_fp_denorm_src 0
		.amdhsa_exception_fp_ieee_div_zero 0
		.amdhsa_exception_fp_ieee_overflow 0
		.amdhsa_exception_fp_ieee_underflow 0
		.amdhsa_exception_fp_ieee_inexact 0
		.amdhsa_exception_int_div_zero 0
	.end_amdhsa_kernel
	.section	.text._ZN9rocsparseL32gtsv_interleaved_batch_lu_kernelILj128EdEEviiiPT0_S2_S2_S2_PiS2_,"axG",@progbits,_ZN9rocsparseL32gtsv_interleaved_batch_lu_kernelILj128EdEEviiiPT0_S2_S2_S2_PiS2_,comdat
.Lfunc_end4:
	.size	_ZN9rocsparseL32gtsv_interleaved_batch_lu_kernelILj128EdEEviiiPT0_S2_S2_S2_PiS2_, .Lfunc_end4-_ZN9rocsparseL32gtsv_interleaved_batch_lu_kernelILj128EdEEviiiPT0_S2_S2_S2_PiS2_
                                        ; -- End function
	.set _ZN9rocsparseL32gtsv_interleaved_batch_lu_kernelILj128EdEEviiiPT0_S2_S2_S2_PiS2_.num_vgpr, 46
	.set _ZN9rocsparseL32gtsv_interleaved_batch_lu_kernelILj128EdEEviiiPT0_S2_S2_S2_PiS2_.num_agpr, 0
	.set _ZN9rocsparseL32gtsv_interleaved_batch_lu_kernelILj128EdEEviiiPT0_S2_S2_S2_PiS2_.numbered_sgpr, 22
	.set _ZN9rocsparseL32gtsv_interleaved_batch_lu_kernelILj128EdEEviiiPT0_S2_S2_S2_PiS2_.num_named_barrier, 0
	.set _ZN9rocsparseL32gtsv_interleaved_batch_lu_kernelILj128EdEEviiiPT0_S2_S2_S2_PiS2_.private_seg_size, 0
	.set _ZN9rocsparseL32gtsv_interleaved_batch_lu_kernelILj128EdEEviiiPT0_S2_S2_S2_PiS2_.uses_vcc, 1
	.set _ZN9rocsparseL32gtsv_interleaved_batch_lu_kernelILj128EdEEviiiPT0_S2_S2_S2_PiS2_.uses_flat_scratch, 0
	.set _ZN9rocsparseL32gtsv_interleaved_batch_lu_kernelILj128EdEEviiiPT0_S2_S2_S2_PiS2_.has_dyn_sized_stack, 0
	.set _ZN9rocsparseL32gtsv_interleaved_batch_lu_kernelILj128EdEEviiiPT0_S2_S2_S2_PiS2_.has_recursion, 0
	.set _ZN9rocsparseL32gtsv_interleaved_batch_lu_kernelILj128EdEEviiiPT0_S2_S2_S2_PiS2_.has_indirect_call, 0
	.section	.AMDGPU.csdata,"",@progbits
; Kernel info:
; codeLenInByte = 2152
; TotalNumSgprs: 24
; NumVgprs: 46
; ScratchSize: 0
; MemoryBound: 0
; FloatMode: 240
; IeeeMode: 1
; LDSByteSize: 0 bytes/workgroup (compile time only)
; SGPRBlocks: 0
; VGPRBlocks: 5
; NumSGPRsForWavesPerEU: 24
; NumVGPRsForWavesPerEU: 46
; Occupancy: 16
; WaveLimiterHint : 0
; COMPUTE_PGM_RSRC2:SCRATCH_EN: 0
; COMPUTE_PGM_RSRC2:USER_SGPR: 6
; COMPUTE_PGM_RSRC2:TRAP_HANDLER: 0
; COMPUTE_PGM_RSRC2:TGID_X_EN: 1
; COMPUTE_PGM_RSRC2:TGID_Y_EN: 0
; COMPUTE_PGM_RSRC2:TGID_Z_EN: 0
; COMPUTE_PGM_RSRC2:TIDIG_COMP_CNT: 0
	.section	.text._ZN9rocsparseL32gtsv_interleaved_batch_qr_kernelILj128EdEEviiiPKT0_PS1_S4_S4_S4_,"axG",@progbits,_ZN9rocsparseL32gtsv_interleaved_batch_qr_kernelILj128EdEEviiiPKT0_PS1_S4_S4_S4_,comdat
	.globl	_ZN9rocsparseL32gtsv_interleaved_batch_qr_kernelILj128EdEEviiiPKT0_PS1_S4_S4_S4_ ; -- Begin function _ZN9rocsparseL32gtsv_interleaved_batch_qr_kernelILj128EdEEviiiPKT0_PS1_S4_S4_S4_
	.p2align	8
	.type	_ZN9rocsparseL32gtsv_interleaved_batch_qr_kernelILj128EdEEviiiPKT0_PS1_S4_S4_S4_,@function
_ZN9rocsparseL32gtsv_interleaved_batch_qr_kernelILj128EdEEviiiPKT0_PS1_S4_S4_S4_: ; @_ZN9rocsparseL32gtsv_interleaved_batch_qr_kernelILj128EdEEviiiPKT0_PS1_S4_S4_S4_
; %bb.0:
	s_load_dwordx4 s[16:19], s[4:5], 0x0
	s_lshl_b32 s1, s6, 7
	s_mov_b32 s0, exec_lo
	v_or_b32_e32 v1, s1, v0
	s_waitcnt lgkmcnt(0)
	v_cmpx_gt_i32_e64 s17, v1
	s_cbranch_execz .LBB5_7
; %bb.1:
	s_load_dwordx8 s[8:15], s[4:5], 0x18
	s_add_i32 s6, s16, -1
	s_cmp_lt_i32 s16, 2
	s_cbranch_scc1 .LBB5_4
; %bb.2:
	v_ashrrev_i32_e32 v2, 31, v1
	s_load_dwordx2 s[2:3], s[4:5], 0x10
	v_mov_b32_e32 v10, v1
	s_mov_b32 s4, s6
	v_lshlrev_b64 v[2:3], 3, v[1:2]
	s_waitcnt lgkmcnt(0)
	v_add_co_u32 v4, vcc_lo, s8, v2
	v_add_co_ci_u32_e64 v5, null, s9, v3, vcc_lo
	v_add_co_u32 v6, vcc_lo, s10, v2
	v_add_co_ci_u32_e64 v7, null, s11, v3, vcc_lo
	;; [unrolled: 2-line block ×3, first 2 shown]
	global_load_dwordx2 v[2:3], v[4:5], off
	global_load_dwordx2 v[4:5], v[6:7], off
	global_load_dwordx2 v[6:7], v[8:9], off
	v_mov_b32_e32 v8, v1
.LBB5_3:                                ; =>This Inner Loop Header: Depth=1
	v_add_nc_u32_e32 v12, s18, v10
	s_waitcnt vmcnt(2)
	v_mul_f64 v[17:18], v[2:3], v[2:3]
	v_ashrrev_i32_e32 v11, 31, v10
	s_add_i32 s4, s4, -1
	s_cmp_eq_u32 s4, 0
	v_ashrrev_i32_e32 v13, 31, v12
	v_lshlrev_b64 v[13:14], 3, v[12:13]
	v_add_co_u32 v15, vcc_lo, s2, v13
	v_add_co_ci_u32_e64 v16, null, s3, v14, vcc_lo
	v_add_co_u32 v25, s0, s8, v13
	v_add_co_ci_u32_e64 v26, null, s9, v14, s0
	global_load_dwordx2 v[15:16], v[15:16], off
	v_add_co_u32 v27, s0, s14, v13
	v_add_co_ci_u32_e64 v28, null, s15, v14, s0
	global_load_dwordx2 v[29:30], v[25:26], off
	global_load_dwordx2 v[31:32], v[27:28], off
	v_add_co_u32 v13, s0, s10, v13
	v_add_co_ci_u32_e64 v14, null, s11, v14, s0
	s_waitcnt vmcnt(2)
	v_fma_f64 v[17:18], v[15:16], v[15:16], v[17:18]
	v_cmp_gt_f64_e32 vcc_lo, 0x10000000, v[17:18]
	v_cndmask_b32_e64 v9, 0, 0x100, vcc_lo
	v_ldexp_f64 v[17:18], v[17:18], v9
	v_cndmask_b32_e64 v9, 0, 0xffffff80, vcc_lo
	v_rsq_f64_e32 v[19:20], v[17:18]
	v_cmp_class_f64_e64 vcc_lo, v[17:18], 0x260
	v_mul_f64 v[21:22], v[17:18], v[19:20]
	v_mul_f64 v[19:20], v[19:20], 0.5
	v_fma_f64 v[23:24], -v[19:20], v[21:22], 0.5
	v_fma_f64 v[21:22], v[21:22], v[23:24], v[21:22]
	v_fma_f64 v[19:20], v[19:20], v[23:24], v[19:20]
	v_fma_f64 v[23:24], -v[21:22], v[21:22], v[17:18]
	v_fma_f64 v[21:22], v[23:24], v[19:20], v[21:22]
	global_load_dwordx2 v[23:24], v[13:14], off
	v_fma_f64 v[33:34], -v[21:22], v[21:22], v[17:18]
	v_fma_f64 v[19:20], v[33:34], v[19:20], v[21:22]
	v_ldexp_f64 v[19:20], v[19:20], v9
	v_ashrrev_i32_e32 v9, 31, v8
	v_cndmask_b32_e32 v18, v20, v18, vcc_lo
	v_cndmask_b32_e32 v17, v19, v17, vcc_lo
	v_div_scale_f64 v[19:20], null, v[17:18], v[17:18], v[2:3]
	v_div_scale_f64 v[21:22], null, v[17:18], v[17:18], v[15:16]
	v_div_scale_f64 v[41:42], vcc_lo, v[2:3], v[17:18], v[2:3]
	v_div_scale_f64 v[43:44], s0, v[15:16], v[17:18], v[15:16]
	v_rcp_f64_e32 v[33:34], v[19:20]
	v_rcp_f64_e32 v[35:36], v[21:22]
	v_fma_f64 v[37:38], -v[19:20], v[33:34], 1.0
	v_fma_f64 v[39:40], -v[21:22], v[35:36], 1.0
	v_fma_f64 v[33:34], v[33:34], v[37:38], v[33:34]
	v_fma_f64 v[35:36], v[35:36], v[39:40], v[35:36]
	v_fma_f64 v[37:38], -v[19:20], v[33:34], 1.0
	v_fma_f64 v[39:40], -v[21:22], v[35:36], 1.0
	v_fma_f64 v[33:34], v[33:34], v[37:38], v[33:34]
	v_fma_f64 v[35:36], v[35:36], v[39:40], v[35:36]
	v_mul_f64 v[37:38], v[41:42], v[33:34]
	v_mul_f64 v[39:40], v[43:44], v[35:36]
	v_fma_f64 v[19:20], -v[19:20], v[37:38], v[41:42]
	v_fma_f64 v[21:22], -v[21:22], v[39:40], v[43:44]
	v_div_fmas_f64 v[19:20], v[19:20], v[33:34], v[37:38]
	s_mov_b32 vcc_lo, s0
	v_lshlrev_b64 v[37:38], 3, v[8:9]
	v_div_fmas_f64 v[21:22], v[21:22], v[35:36], v[39:40]
	v_lshlrev_b64 v[35:36], 3, v[10:11]
	v_mov_b32_e32 v10, v12
	v_add_nc_u32_e32 v8, s17, v8
	v_div_fixup_f64 v[19:20], v[19:20], v[17:18], v[2:3]
	v_div_fixup_f64 v[17:18], v[21:22], v[17:18], v[15:16]
	s_waitcnt vmcnt(2)
	v_mul_f64 v[21:22], v[29:30], v[19:20]
	s_waitcnt vmcnt(1)
	v_mul_f64 v[33:34], v[19:20], v[31:32]
	v_mul_f64 v[15:16], v[15:16], v[17:18]
	;; [unrolled: 1-line block ×4, first 2 shown]
	s_waitcnt vmcnt(0)
	v_mul_f64 v[11:12], v[23:24], v[17:18]
	v_fma_f64 v[15:16], v[2:3], v[19:20], v[15:16]
	v_fma_f64 v[2:3], -v[4:5], v[17:18], v[21:22]
	v_fma_f64 v[21:22], v[4:5], v[19:20], v[29:30]
	v_mul_f64 v[4:5], v[23:24], v[19:20]
	v_fma_f64 v[19:20], v[6:7], v[19:20], v[31:32]
	v_fma_f64 v[6:7], -v[6:7], v[17:18], v[33:34]
	v_add_co_u32 v17, vcc_lo, s8, v35
	v_add_co_ci_u32_e64 v18, null, s9, v36, vcc_lo
	v_add_co_u32 v23, vcc_lo, s10, v35
	v_add_co_ci_u32_e64 v24, null, s11, v36, vcc_lo
	;; [unrolled: 2-line block ×4, first 2 shown]
	global_store_dwordx2 v[29:30], v[11:12], off
	global_store_dwordx2 v[17:18], v[15:16], off
	global_store_dwordx2 v[25:26], v[2:3], off
	global_store_dwordx2 v[23:24], v[21:22], off
	global_store_dwordx2 v[13:14], v[4:5], off
	global_store_dwordx2 v[31:32], v[19:20], off
	global_store_dwordx2 v[27:28], v[6:7], off
	s_cbranch_scc0 .LBB5_3
.LBB5_4:
	s_mul_i32 s0, s18, s6
	v_add_nc_u32_e32 v2, s0, v1
	s_sub_i32 s2, s0, s18
	s_cmp_lt_i32 s16, 3
	v_ashrrev_i32_e32 v3, 31, v2
	v_lshlrev_b64 v[2:3], 3, v[2:3]
	s_waitcnt lgkmcnt(0)
	v_add_co_u32 v4, vcc_lo, s14, v2
	v_add_co_ci_u32_e64 v5, null, s15, v3, vcc_lo
	v_add_co_u32 v2, vcc_lo, s8, v2
	v_add_co_ci_u32_e64 v3, null, s9, v3, vcc_lo
	global_load_dwordx2 v[6:7], v[4:5], off
	global_load_dwordx2 v[2:3], v[2:3], off
	s_waitcnt vmcnt(0)
	v_div_scale_f64 v[8:9], null, v[2:3], v[2:3], v[6:7]
	v_div_scale_f64 v[14:15], vcc_lo, v[6:7], v[2:3], v[6:7]
	v_rcp_f64_e32 v[10:11], v[8:9]
	v_fma_f64 v[12:13], -v[8:9], v[10:11], 1.0
	v_fma_f64 v[10:11], v[10:11], v[12:13], v[10:11]
	v_fma_f64 v[12:13], -v[8:9], v[10:11], 1.0
	v_fma_f64 v[10:11], v[10:11], v[12:13], v[10:11]
	v_mul_f64 v[12:13], v[14:15], v[10:11]
	v_fma_f64 v[8:9], -v[8:9], v[12:13], v[14:15]
	v_div_fmas_f64 v[8:9], v[8:9], v[10:11], v[12:13]
	v_add_nc_u32_e32 v10, s2, v1
	v_ashrrev_i32_e32 v11, 31, v10
	v_div_fixup_f64 v[2:3], v[8:9], v[2:3], v[6:7]
	v_lshlrev_b64 v[6:7], 3, v[10:11]
	v_add_co_u32 v8, vcc_lo, s10, v6
	v_add_co_ci_u32_e64 v9, null, s11, v7, vcc_lo
	v_add_co_u32 v10, vcc_lo, s14, v6
	v_add_co_ci_u32_e64 v11, null, s15, v7, vcc_lo
	global_load_dwordx2 v[8:9], v[8:9], off
	v_add_co_u32 v6, vcc_lo, s8, v6
	v_add_co_ci_u32_e64 v7, null, s9, v7, vcc_lo
	global_store_dwordx2 v[4:5], v[2:3], off
	global_load_dwordx2 v[4:5], v[10:11], off
	global_load_dwordx2 v[6:7], v[6:7], off
	s_waitcnt vmcnt(1)
	v_fma_f64 v[2:3], -v[2:3], v[8:9], v[4:5]
	s_waitcnt vmcnt(0)
	v_div_scale_f64 v[4:5], null, v[6:7], v[6:7], v[2:3]
	v_rcp_f64_e32 v[8:9], v[4:5]
	v_fma_f64 v[12:13], -v[4:5], v[8:9], 1.0
	v_fma_f64 v[8:9], v[8:9], v[12:13], v[8:9]
	v_fma_f64 v[12:13], -v[4:5], v[8:9], 1.0
	v_fma_f64 v[8:9], v[8:9], v[12:13], v[8:9]
	v_div_scale_f64 v[12:13], vcc_lo, v[2:3], v[6:7], v[2:3]
	v_mul_f64 v[14:15], v[12:13], v[8:9]
	v_fma_f64 v[4:5], -v[4:5], v[14:15], v[12:13]
	v_div_fmas_f64 v[4:5], v[4:5], v[8:9], v[14:15]
	v_div_fixup_f64 v[2:3], v[4:5], v[6:7], v[2:3]
	global_store_dwordx2 v[10:11], v[2:3], off
	s_cbranch_scc1 .LBB5_7
; %bb.5:
	s_add_i32 s3, s16, -3
	s_add_i32 s2, s16, -2
	s_mul_i32 s4, s17, s3
	s_mul_i32 s3, s18, s3
	v_add3_u32 v2, s1, s4, v0
	s_mul_i32 s1, s18, s2
.LBB5_6:                                ; =>This Inner Loop Header: Depth=1
	v_add_nc_u32_e32 v3, s3, v1
	v_add_nc_u32_e32 v5, s1, v1
	;; [unrolled: 1-line block ×3, first 2 shown]
	v_subrev_nc_u32_e32 v1, s18, v1
	s_add_i32 s2, s2, -1
	v_ashrrev_i32_e32 v4, 31, v3
	v_ashrrev_i32_e32 v6, 31, v5
	v_ashrrev_i32_e32 v12, 31, v11
	s_cmp_lg_u32 s2, 0
	v_lshlrev_b64 v[7:8], 3, v[3:4]
	v_lshlrev_b64 v[3:4], 3, v[5:6]
	;; [unrolled: 1-line block ×3, first 2 shown]
	v_add_co_u32 v5, vcc_lo, s14, v7
	v_add_co_ci_u32_e64 v6, null, s15, v8, vcc_lo
	v_add_co_u32 v9, vcc_lo, s10, v7
	v_add_co_ci_u32_e64 v10, null, s11, v8, vcc_lo
	;; [unrolled: 2-line block ×3, first 2 shown]
	global_load_dwordx2 v[13:14], v[5:6], off
	global_load_dwordx2 v[9:10], v[9:10], off
	;; [unrolled: 1-line block ×3, first 2 shown]
	v_ashrrev_i32_e32 v3, 31, v2
	v_lshlrev_b64 v[3:4], 3, v[2:3]
	v_subrev_nc_u32_e32 v2, s17, v2
	v_add_co_u32 v3, vcc_lo, s12, v3
	v_add_co_ci_u32_e64 v4, null, s13, v4, vcc_lo
	v_add_co_u32 v11, vcc_lo, s14, v11
	v_add_co_ci_u32_e64 v12, null, s15, v12, vcc_lo
	global_load_dwordx2 v[3:4], v[3:4], off
	global_load_dwordx2 v[11:12], v[11:12], off
	v_add_co_u32 v7, vcc_lo, s8, v7
	v_add_co_ci_u32_e64 v8, null, s9, v8, vcc_lo
	global_load_dwordx2 v[7:8], v[7:8], off
	s_waitcnt vmcnt(3)
	v_fma_f64 v[9:10], -v[9:10], v[15:16], v[13:14]
	s_waitcnt vmcnt(1)
	v_fma_f64 v[3:4], -v[3:4], v[11:12], v[9:10]
	s_waitcnt vmcnt(0)
	v_div_scale_f64 v[9:10], null, v[7:8], v[7:8], v[3:4]
	v_div_scale_f64 v[15:16], vcc_lo, v[3:4], v[7:8], v[3:4]
	v_rcp_f64_e32 v[11:12], v[9:10]
	v_fma_f64 v[13:14], -v[9:10], v[11:12], 1.0
	v_fma_f64 v[11:12], v[11:12], v[13:14], v[11:12]
	v_fma_f64 v[13:14], -v[9:10], v[11:12], 1.0
	v_fma_f64 v[11:12], v[11:12], v[13:14], v[11:12]
	v_mul_f64 v[13:14], v[15:16], v[11:12]
	v_fma_f64 v[9:10], -v[9:10], v[13:14], v[15:16]
	v_div_fmas_f64 v[9:10], v[9:10], v[11:12], v[13:14]
	v_div_fixup_f64 v[3:4], v[9:10], v[7:8], v[3:4]
	global_store_dwordx2 v[5:6], v[3:4], off
	s_cbranch_scc1 .LBB5_6
.LBB5_7:
	s_endpgm
	.section	.rodata,"a",@progbits
	.p2align	6, 0x0
	.amdhsa_kernel _ZN9rocsparseL32gtsv_interleaved_batch_qr_kernelILj128EdEEviiiPKT0_PS1_S4_S4_S4_
		.amdhsa_group_segment_fixed_size 0
		.amdhsa_private_segment_fixed_size 0
		.amdhsa_kernarg_size 56
		.amdhsa_user_sgpr_count 6
		.amdhsa_user_sgpr_private_segment_buffer 1
		.amdhsa_user_sgpr_dispatch_ptr 0
		.amdhsa_user_sgpr_queue_ptr 0
		.amdhsa_user_sgpr_kernarg_segment_ptr 1
		.amdhsa_user_sgpr_dispatch_id 0
		.amdhsa_user_sgpr_flat_scratch_init 0
		.amdhsa_user_sgpr_private_segment_size 0
		.amdhsa_wavefront_size32 1
		.amdhsa_uses_dynamic_stack 0
		.amdhsa_system_sgpr_private_segment_wavefront_offset 0
		.amdhsa_system_sgpr_workgroup_id_x 1
		.amdhsa_system_sgpr_workgroup_id_y 0
		.amdhsa_system_sgpr_workgroup_id_z 0
		.amdhsa_system_sgpr_workgroup_info 0
		.amdhsa_system_vgpr_workitem_id 0
		.amdhsa_next_free_vgpr 45
		.amdhsa_next_free_sgpr 20
		.amdhsa_reserve_vcc 1
		.amdhsa_reserve_flat_scratch 0
		.amdhsa_float_round_mode_32 0
		.amdhsa_float_round_mode_16_64 0
		.amdhsa_float_denorm_mode_32 3
		.amdhsa_float_denorm_mode_16_64 3
		.amdhsa_dx10_clamp 1
		.amdhsa_ieee_mode 1
		.amdhsa_fp16_overflow 0
		.amdhsa_workgroup_processor_mode 1
		.amdhsa_memory_ordered 1
		.amdhsa_forward_progress 1
		.amdhsa_shared_vgpr_count 0
		.amdhsa_exception_fp_ieee_invalid_op 0
		.amdhsa_exception_fp_denorm_src 0
		.amdhsa_exception_fp_ieee_div_zero 0
		.amdhsa_exception_fp_ieee_overflow 0
		.amdhsa_exception_fp_ieee_underflow 0
		.amdhsa_exception_fp_ieee_inexact 0
		.amdhsa_exception_int_div_zero 0
	.end_amdhsa_kernel
	.section	.text._ZN9rocsparseL32gtsv_interleaved_batch_qr_kernelILj128EdEEviiiPKT0_PS1_S4_S4_S4_,"axG",@progbits,_ZN9rocsparseL32gtsv_interleaved_batch_qr_kernelILj128EdEEviiiPKT0_PS1_S4_S4_S4_,comdat
.Lfunc_end5:
	.size	_ZN9rocsparseL32gtsv_interleaved_batch_qr_kernelILj128EdEEviiiPKT0_PS1_S4_S4_S4_, .Lfunc_end5-_ZN9rocsparseL32gtsv_interleaved_batch_qr_kernelILj128EdEEviiiPKT0_PS1_S4_S4_S4_
                                        ; -- End function
	.set _ZN9rocsparseL32gtsv_interleaved_batch_qr_kernelILj128EdEEviiiPKT0_PS1_S4_S4_S4_.num_vgpr, 45
	.set _ZN9rocsparseL32gtsv_interleaved_batch_qr_kernelILj128EdEEviiiPKT0_PS1_S4_S4_S4_.num_agpr, 0
	.set _ZN9rocsparseL32gtsv_interleaved_batch_qr_kernelILj128EdEEviiiPKT0_PS1_S4_S4_S4_.numbered_sgpr, 20
	.set _ZN9rocsparseL32gtsv_interleaved_batch_qr_kernelILj128EdEEviiiPKT0_PS1_S4_S4_S4_.num_named_barrier, 0
	.set _ZN9rocsparseL32gtsv_interleaved_batch_qr_kernelILj128EdEEviiiPKT0_PS1_S4_S4_S4_.private_seg_size, 0
	.set _ZN9rocsparseL32gtsv_interleaved_batch_qr_kernelILj128EdEEviiiPKT0_PS1_S4_S4_S4_.uses_vcc, 1
	.set _ZN9rocsparseL32gtsv_interleaved_batch_qr_kernelILj128EdEEviiiPKT0_PS1_S4_S4_S4_.uses_flat_scratch, 0
	.set _ZN9rocsparseL32gtsv_interleaved_batch_qr_kernelILj128EdEEviiiPKT0_PS1_S4_S4_S4_.has_dyn_sized_stack, 0
	.set _ZN9rocsparseL32gtsv_interleaved_batch_qr_kernelILj128EdEEviiiPKT0_PS1_S4_S4_S4_.has_recursion, 0
	.set _ZN9rocsparseL32gtsv_interleaved_batch_qr_kernelILj128EdEEviiiPKT0_PS1_S4_S4_S4_.has_indirect_call, 0
	.section	.AMDGPU.csdata,"",@progbits
; Kernel info:
; codeLenInByte = 1640
; TotalNumSgprs: 22
; NumVgprs: 45
; ScratchSize: 0
; MemoryBound: 0
; FloatMode: 240
; IeeeMode: 1
; LDSByteSize: 0 bytes/workgroup (compile time only)
; SGPRBlocks: 0
; VGPRBlocks: 5
; NumSGPRsForWavesPerEU: 22
; NumVGPRsForWavesPerEU: 45
; Occupancy: 16
; WaveLimiterHint : 0
; COMPUTE_PGM_RSRC2:SCRATCH_EN: 0
; COMPUTE_PGM_RSRC2:USER_SGPR: 6
; COMPUTE_PGM_RSRC2:TRAP_HANDLER: 0
; COMPUTE_PGM_RSRC2:TGID_X_EN: 1
; COMPUTE_PGM_RSRC2:TGID_Y_EN: 0
; COMPUTE_PGM_RSRC2:TGID_Z_EN: 0
; COMPUTE_PGM_RSRC2:TIDIG_COMP_CNT: 0
	.section	.text._ZN9rocsparseL36gtsv_interleaved_batch_thomas_kernelILj128E21rocsparse_complex_numIfEEEviiiPKT0_S5_S5_PS3_S6_S6_,"axG",@progbits,_ZN9rocsparseL36gtsv_interleaved_batch_thomas_kernelILj128E21rocsparse_complex_numIfEEEviiiPKT0_S5_S5_PS3_S6_S6_,comdat
	.globl	_ZN9rocsparseL36gtsv_interleaved_batch_thomas_kernelILj128E21rocsparse_complex_numIfEEEviiiPKT0_S5_S5_PS3_S6_S6_ ; -- Begin function _ZN9rocsparseL36gtsv_interleaved_batch_thomas_kernelILj128E21rocsparse_complex_numIfEEEviiiPKT0_S5_S5_PS3_S6_S6_
	.p2align	8
	.type	_ZN9rocsparseL36gtsv_interleaved_batch_thomas_kernelILj128E21rocsparse_complex_numIfEEEviiiPKT0_S5_S5_PS3_S6_S6_,@function
_ZN9rocsparseL36gtsv_interleaved_batch_thomas_kernelILj128E21rocsparse_complex_numIfEEEviiiPKT0_S5_S5_PS3_S6_S6_: ; @_ZN9rocsparseL36gtsv_interleaved_batch_thomas_kernelILj128E21rocsparse_complex_numIfEEEviiiPKT0_S5_S5_PS3_S6_S6_
; %bb.0:
	s_load_dwordx4 s[16:19], s[4:5], 0x0
	s_lshl_b32 s1, s6, 7
	s_mov_b32 s0, exec_lo
	v_or_b32_e32 v1, s1, v0
	s_waitcnt lgkmcnt(0)
	v_cmpx_gt_i32_e64 s17, v1
	s_cbranch_execz .LBB6_9
; %bb.1:
	s_load_dwordx8 s[8:15], s[4:5], 0x18
	v_ashrrev_i32_e32 v2, 31, v1
	s_load_dwordx2 s[2:3], s[4:5], 0x38
	s_cmp_gt_i32 s16, 1
	s_cselect_b32 s24, -1, 0
	v_lshlrev_b64 v[8:9], 3, v[1:2]
	s_waitcnt lgkmcnt(0)
	v_add_co_u32 v1, vcc_lo, s8, v8
	v_add_co_ci_u32_e64 v2, null, s9, v9, vcc_lo
	v_add_co_u32 v3, vcc_lo, s10, v8
	v_add_co_ci_u32_e64 v4, null, s11, v9, vcc_lo
	global_load_dwordx2 v[5:6], v[1:2], off
	v_add_co_u32 v1, vcc_lo, s2, v8
	v_add_co_ci_u32_e64 v2, null, s3, v9, vcc_lo
	global_load_dwordx2 v[10:11], v[3:4], off
	global_load_dwordx2 v[12:13], v[1:2], off
	s_waitcnt vmcnt(2)
	v_mul_f32_e32 v7, v6, v6
	v_fmac_f32_e32 v7, v5, v5
	s_waitcnt vmcnt(1)
	v_mul_f32_e32 v18, v6, v11
	v_mul_f32_e64 v19, v6, -v10
	s_waitcnt vmcnt(0)
	v_mul_f32_e64 v20, v6, -v12
	v_div_scale_f32 v14, null, v7, v7, 1.0
	v_div_scale_f32 v16, vcc_lo, 1.0, v7, 1.0
	v_fmac_f32_e32 v18, v10, v5
	v_rcp_f32_e32 v15, v14
	v_fmac_f32_e32 v19, v11, v5
	v_fmac_f32_e32 v20, v13, v5
	v_fma_f32 v3, -v14, v15, 1.0
	v_fmac_f32_e32 v15, v3, v15
	v_mul_f32_e32 v17, v16, v15
	v_fma_f32 v3, -v14, v17, v16
	v_fmac_f32_e32 v17, v3, v15
	v_add_co_u32 v3, s0, s12, v8
	v_add_co_ci_u32_e64 v4, null, s13, v9, s0
	v_fma_f32 v14, -v14, v17, v16
	v_mul_f32_e32 v16, v6, v13
	v_div_fmas_f32 v6, v14, v15, v17
	v_fmac_f32_e32 v16, v12, v5
	v_add_co_u32 v5, vcc_lo, s14, v8
	v_div_fixup_f32 v7, v6, v7, 1.0
	v_add_co_ci_u32_e64 v6, null, s15, v9, vcc_lo
	s_and_b32 vcc_lo, exec_lo, s24
	v_mul_f32_e32 v10, v7, v18
	v_mul_f32_e32 v11, v19, v7
	v_mul_f32_e32 v12, v7, v16
	v_mul_f32_e32 v13, v7, v20
	global_store_dwordx2 v[3:4], v[10:11], off
	global_store_dwordx2 v[5:6], v[12:13], off
	s_cbranch_vccnz .LBB6_3
; %bb.2:
	s_add_i32 s19, s16, -1
	s_cbranch_execz .LBB6_4
	s_branch .LBB6_6
.LBB6_3:
                                        ; implicit-def: $sgpr19
.LBB6_4:
	s_load_dwordx2 s[4:5], s[4:5], 0x10
	s_ashr_i32 s19, s18, 31
	s_ashr_i32 s21, s17, 31
	s_lshl_b64 s[6:7], s[18:19], 3
	s_mov_b32 s20, s17
	v_add_co_u32 v10, vcc_lo, s6, v8
	s_lshl_b64 s[20:21], s[20:21], 3
	v_add_co_ci_u32_e64 v11, null, s7, v9, vcc_lo
	v_add3_u32 v7, s1, s18, v0
	v_add_co_u32 v0, vcc_lo, s20, v8
	v_add_co_ci_u32_e64 v9, null, s21, v9, vcc_lo
	s_add_i32 s19, s16, -1
	s_mov_b32 s22, 0
	s_mov_b32 s1, s19
.LBB6_5:                                ; =>This Inner Loop Header: Depth=1
	v_ashrrev_i32_e32 v8, 31, v7
	s_ashr_i32 s23, s22, 31
	s_add_i32 s1, s1, -1
	s_lshl_b64 s[26:27], s[22:23], 3
	s_add_i32 s22, s22, s17
	v_lshlrev_b64 v[14:15], 3, v[7:8]
	v_add_co_u32 v12, vcc_lo, v3, s26
	v_add_co_ci_u32_e64 v13, null, s27, v4, vcc_lo
	v_add_nc_u32_e32 v7, s18, v7
	s_waitcnt lgkmcnt(0)
	v_add_co_u32 v14, vcc_lo, s4, v14
	v_add_co_ci_u32_e64 v15, null, s5, v15, vcc_lo
	v_add_co_u32 v18, vcc_lo, s8, v10
	global_load_dwordx2 v[16:17], v[12:13], off
	global_load_dwordx2 v[14:15], v[14:15], off
	v_add_co_ci_u32_e64 v19, null, s9, v11, vcc_lo
	v_add_co_u32 v20, vcc_lo, s10, v10
	v_add_co_ci_u32_e64 v21, null, s11, v11, vcc_lo
	global_load_dwordx2 v[18:19], v[18:19], off
	s_cmp_eq_u32 s1, 0
	global_load_dwordx2 v[20:21], v[20:21], off
	s_waitcnt vmcnt(2)
	v_mul_f32_e32 v8, v15, v16
	v_mul_f32_e64 v22, v15, -v17
	v_fmac_f32_e32 v8, v17, v14
	v_fmac_f32_e32 v22, v16, v14
	s_waitcnt vmcnt(1)
	v_sub_f32_e32 v8, v19, v8
	v_sub_f32_e32 v17, v18, v22
	v_mul_f32_e32 v22, v8, v8
	v_fmac_f32_e32 v22, v17, v17
	v_div_scale_f32 v23, null, v22, v22, 1.0
	v_div_scale_f32 v25, vcc_lo, 1.0, v22, 1.0
	v_rcp_f32_e32 v24, v23
	v_fma_f32 v16, -v23, v24, 1.0
	v_fmac_f32_e32 v24, v16, v24
	v_add_co_u32 v16, s0, s12, v0
	v_mul_f32_e32 v26, v25, v24
	v_fma_f32 v27, -v23, v26, v25
	v_fmac_f32_e32 v26, v27, v24
	s_waitcnt vmcnt(0)
	v_mul_f32_e32 v27, v8, v21
	v_mul_f32_e64 v8, v8, -v20
	v_fma_f32 v23, -v23, v26, v25
	v_fmac_f32_e32 v27, v20, v17
	v_fmac_f32_e32 v8, v21, v17
	v_add_co_ci_u32_e64 v17, null, s13, v9, s0
	v_div_fmas_f32 v23, v23, v24, v26
	v_div_fixup_f32 v21, v23, v22, 1.0
	v_mul_f32_e32 v20, v27, v21
	v_mul_f32_e32 v21, v8, v21
	global_store_dwordx2 v[16:17], v[20:21], off
	global_load_dwordx2 v[12:13], v[12:13], off
	v_add_co_u32 v20, s0, v5, s26
	v_add_co_ci_u32_e64 v21, null, s27, v6, s0
	v_add_co_u32 v16, vcc_lo, s2, v10
	v_add_co_ci_u32_e64 v17, null, s3, v11, vcc_lo
	global_load_dwordx2 v[20:21], v[20:21], off
	v_add_co_u32 v10, s0, v10, s6
	global_load_dwordx2 v[16:17], v[16:17], off
	v_add_co_ci_u32_e64 v11, null, s7, v11, s0
	s_waitcnt vmcnt(2)
	v_mul_f32_e32 v8, v15, v12
	v_mul_f32_e64 v22, v15, -v13
	v_fmac_f32_e32 v8, v13, v14
	v_fmac_f32_e32 v22, v12, v14
	v_add_co_u32 v12, vcc_lo, s14, v0
	v_add_co_ci_u32_e64 v13, null, s15, v9, vcc_lo
	v_sub_f32_e32 v8, v19, v8
	v_sub_f32_e32 v18, v18, v22
	v_mul_f32_e32 v19, v8, v8
	v_fmac_f32_e32 v19, v18, v18
	v_div_scale_f32 v22, null, v19, v19, 1.0
	v_div_scale_f32 v25, vcc_lo, 1.0, v19, 1.0
	v_rcp_f32_e32 v23, v22
	v_fma_f32 v24, -v22, v23, 1.0
	v_fmac_f32_e32 v23, v24, v23
	s_waitcnt vmcnt(1)
	v_mul_f32_e32 v24, v15, v20
	v_mul_f32_e64 v15, v15, -v21
	v_mul_f32_e32 v26, v25, v23
	v_fmac_f32_e32 v24, v21, v14
	v_fmac_f32_e32 v15, v20, v14
	v_fma_f32 v21, -v22, v26, v25
	s_waitcnt vmcnt(0)
	v_sub_f32_e32 v14, v17, v24
	v_sub_f32_e32 v15, v16, v15
	v_fmac_f32_e32 v26, v21, v23
	v_mul_f32_e32 v16, v14, v8
	v_mul_f32_e64 v8, v8, -v15
	v_fma_f32 v17, -v22, v26, v25
	v_fmac_f32_e32 v16, v15, v18
	v_fmac_f32_e32 v8, v14, v18
	v_div_fmas_f32 v17, v17, v23, v26
	v_add_co_u32 v0, vcc_lo, v0, s20
	v_add_co_ci_u32_e64 v9, null, s21, v9, vcc_lo
	v_div_fixup_f32 v15, v17, v19, 1.0
	v_mul_f32_e32 v14, v16, v15
	v_mul_f32_e32 v15, v8, v15
	global_store_dwordx2 v[12:13], v[14:15], off
	s_cbranch_scc0 .LBB6_5
.LBB6_6:
	s_mul_i32 s0, s17, s19
	s_ashr_i32 s1, s0, 31
	s_lshl_b64 s[0:1], s[0:1], 3
	v_add_co_u32 v7, vcc_lo, v5, s0
	v_add_co_ci_u32_e64 v8, null, s1, v6, vcc_lo
	s_mul_i32 s0, s18, s19
	s_ashr_i32 s1, s0, 31
	global_load_dwordx2 v[7:8], v[7:8], off
	s_lshl_b64 s[2:3], s[0:1], 3
	v_add_co_u32 v9, vcc_lo, v1, s2
	v_add_co_ci_u32_e64 v10, null, s3, v2, vcc_lo
	s_andn2_b32 vcc_lo, exec_lo, s24
	s_waitcnt vmcnt(0)
	global_store_dwordx2 v[9:10], v[7:8], off
	s_cbranch_vccnz .LBB6_9
; %bb.7:
	s_add_i32 s2, s16, -2
	s_mov_b32 s4, 0
	s_mul_i32 s1, s18, s2
	s_mul_i32 s2, s17, s2
	s_inst_prefetch 0x1
	.p2align	6
.LBB6_8:                                ; =>This Inner Loop Header: Depth=1
	s_ashr_i32 s3, s2, 31
	s_add_i32 s6, s0, s4
	s_lshl_b64 s[8:9], s[2:3], 3
	s_ashr_i32 s7, s6, 31
	v_add_co_u32 v7, vcc_lo, v3, s8
	s_lshl_b64 s[6:7], s[6:7], 3
	v_add_co_ci_u32_e64 v8, null, s9, v4, vcc_lo
	v_add_co_u32 v9, vcc_lo, v1, s6
	v_add_co_ci_u32_e64 v10, null, s7, v2, vcc_lo
	global_load_dwordx2 v[7:8], v[7:8], off
	global_load_dwordx2 v[9:10], v[9:10], off
	v_add_co_u32 v11, vcc_lo, v5, s8
	v_add_co_ci_u32_e64 v12, null, s9, v6, vcc_lo
	s_add_i32 s6, s1, s4
	s_add_i32 s19, s19, -1
	s_ashr_i32 s7, s6, 31
	global_load_dwordx2 v[11:12], v[11:12], off
	s_lshl_b64 s[6:7], s[6:7], 3
	s_sub_i32 s4, s4, s18
	s_sub_i32 s2, s2, s17
	s_cmp_lg_u32 s19, 0
	s_waitcnt vmcnt(1)
	v_mul_f32_e64 v0, v10, -v8
	v_mul_f32_e32 v10, v10, v7
	v_fmac_f32_e32 v0, v7, v9
	v_fmac_f32_e32 v10, v8, v9
	v_add_co_u32 v7, vcc_lo, v1, s6
	v_add_co_ci_u32_e64 v8, null, s7, v2, vcc_lo
	s_waitcnt vmcnt(0)
	v_sub_f32_e32 v9, v11, v0
	v_sub_f32_e32 v10, v12, v10
	global_store_dwordx2 v[7:8], v[9:10], off
	s_cbranch_scc1 .LBB6_8
.LBB6_9:
	s_inst_prefetch 0x2
	s_endpgm
	.section	.rodata,"a",@progbits
	.p2align	6, 0x0
	.amdhsa_kernel _ZN9rocsparseL36gtsv_interleaved_batch_thomas_kernelILj128E21rocsparse_complex_numIfEEEviiiPKT0_S5_S5_PS3_S6_S6_
		.amdhsa_group_segment_fixed_size 0
		.amdhsa_private_segment_fixed_size 0
		.amdhsa_kernarg_size 64
		.amdhsa_user_sgpr_count 6
		.amdhsa_user_sgpr_private_segment_buffer 1
		.amdhsa_user_sgpr_dispatch_ptr 0
		.amdhsa_user_sgpr_queue_ptr 0
		.amdhsa_user_sgpr_kernarg_segment_ptr 1
		.amdhsa_user_sgpr_dispatch_id 0
		.amdhsa_user_sgpr_flat_scratch_init 0
		.amdhsa_user_sgpr_private_segment_size 0
		.amdhsa_wavefront_size32 1
		.amdhsa_uses_dynamic_stack 0
		.amdhsa_system_sgpr_private_segment_wavefront_offset 0
		.amdhsa_system_sgpr_workgroup_id_x 1
		.amdhsa_system_sgpr_workgroup_id_y 0
		.amdhsa_system_sgpr_workgroup_id_z 0
		.amdhsa_system_sgpr_workgroup_info 0
		.amdhsa_system_vgpr_workitem_id 0
		.amdhsa_next_free_vgpr 28
		.amdhsa_next_free_sgpr 28
		.amdhsa_reserve_vcc 1
		.amdhsa_reserve_flat_scratch 0
		.amdhsa_float_round_mode_32 0
		.amdhsa_float_round_mode_16_64 0
		.amdhsa_float_denorm_mode_32 3
		.amdhsa_float_denorm_mode_16_64 3
		.amdhsa_dx10_clamp 1
		.amdhsa_ieee_mode 1
		.amdhsa_fp16_overflow 0
		.amdhsa_workgroup_processor_mode 1
		.amdhsa_memory_ordered 1
		.amdhsa_forward_progress 1
		.amdhsa_shared_vgpr_count 0
		.amdhsa_exception_fp_ieee_invalid_op 0
		.amdhsa_exception_fp_denorm_src 0
		.amdhsa_exception_fp_ieee_div_zero 0
		.amdhsa_exception_fp_ieee_overflow 0
		.amdhsa_exception_fp_ieee_underflow 0
		.amdhsa_exception_fp_ieee_inexact 0
		.amdhsa_exception_int_div_zero 0
	.end_amdhsa_kernel
	.section	.text._ZN9rocsparseL36gtsv_interleaved_batch_thomas_kernelILj128E21rocsparse_complex_numIfEEEviiiPKT0_S5_S5_PS3_S6_S6_,"axG",@progbits,_ZN9rocsparseL36gtsv_interleaved_batch_thomas_kernelILj128E21rocsparse_complex_numIfEEEviiiPKT0_S5_S5_PS3_S6_S6_,comdat
.Lfunc_end6:
	.size	_ZN9rocsparseL36gtsv_interleaved_batch_thomas_kernelILj128E21rocsparse_complex_numIfEEEviiiPKT0_S5_S5_PS3_S6_S6_, .Lfunc_end6-_ZN9rocsparseL36gtsv_interleaved_batch_thomas_kernelILj128E21rocsparse_complex_numIfEEEviiiPKT0_S5_S5_PS3_S6_S6_
                                        ; -- End function
	.set _ZN9rocsparseL36gtsv_interleaved_batch_thomas_kernelILj128E21rocsparse_complex_numIfEEEviiiPKT0_S5_S5_PS3_S6_S6_.num_vgpr, 28
	.set _ZN9rocsparseL36gtsv_interleaved_batch_thomas_kernelILj128E21rocsparse_complex_numIfEEEviiiPKT0_S5_S5_PS3_S6_S6_.num_agpr, 0
	.set _ZN9rocsparseL36gtsv_interleaved_batch_thomas_kernelILj128E21rocsparse_complex_numIfEEEviiiPKT0_S5_S5_PS3_S6_S6_.numbered_sgpr, 28
	.set _ZN9rocsparseL36gtsv_interleaved_batch_thomas_kernelILj128E21rocsparse_complex_numIfEEEviiiPKT0_S5_S5_PS3_S6_S6_.num_named_barrier, 0
	.set _ZN9rocsparseL36gtsv_interleaved_batch_thomas_kernelILj128E21rocsparse_complex_numIfEEEviiiPKT0_S5_S5_PS3_S6_S6_.private_seg_size, 0
	.set _ZN9rocsparseL36gtsv_interleaved_batch_thomas_kernelILj128E21rocsparse_complex_numIfEEEviiiPKT0_S5_S5_PS3_S6_S6_.uses_vcc, 1
	.set _ZN9rocsparseL36gtsv_interleaved_batch_thomas_kernelILj128E21rocsparse_complex_numIfEEEviiiPKT0_S5_S5_PS3_S6_S6_.uses_flat_scratch, 0
	.set _ZN9rocsparseL36gtsv_interleaved_batch_thomas_kernelILj128E21rocsparse_complex_numIfEEEviiiPKT0_S5_S5_PS3_S6_S6_.has_dyn_sized_stack, 0
	.set _ZN9rocsparseL36gtsv_interleaved_batch_thomas_kernelILj128E21rocsparse_complex_numIfEEEviiiPKT0_S5_S5_PS3_S6_S6_.has_recursion, 0
	.set _ZN9rocsparseL36gtsv_interleaved_batch_thomas_kernelILj128E21rocsparse_complex_numIfEEEviiiPKT0_S5_S5_PS3_S6_S6_.has_indirect_call, 0
	.section	.AMDGPU.csdata,"",@progbits
; Kernel info:
; codeLenInByte = 1344
; TotalNumSgprs: 30
; NumVgprs: 28
; ScratchSize: 0
; MemoryBound: 0
; FloatMode: 240
; IeeeMode: 1
; LDSByteSize: 0 bytes/workgroup (compile time only)
; SGPRBlocks: 0
; VGPRBlocks: 3
; NumSGPRsForWavesPerEU: 30
; NumVGPRsForWavesPerEU: 28
; Occupancy: 16
; WaveLimiterHint : 0
; COMPUTE_PGM_RSRC2:SCRATCH_EN: 0
; COMPUTE_PGM_RSRC2:USER_SGPR: 6
; COMPUTE_PGM_RSRC2:TRAP_HANDLER: 0
; COMPUTE_PGM_RSRC2:TGID_X_EN: 1
; COMPUTE_PGM_RSRC2:TGID_Y_EN: 0
; COMPUTE_PGM_RSRC2:TGID_Z_EN: 0
; COMPUTE_PGM_RSRC2:TIDIG_COMP_CNT: 0
	.section	.text._ZN9rocsparseL32gtsv_interleaved_batch_lu_kernelILj128E21rocsparse_complex_numIfEEEviiiPT0_S4_S4_S4_PiS4_,"axG",@progbits,_ZN9rocsparseL32gtsv_interleaved_batch_lu_kernelILj128E21rocsparse_complex_numIfEEEviiiPT0_S4_S4_S4_PiS4_,comdat
	.globl	_ZN9rocsparseL32gtsv_interleaved_batch_lu_kernelILj128E21rocsparse_complex_numIfEEEviiiPT0_S4_S4_S4_PiS4_ ; -- Begin function _ZN9rocsparseL32gtsv_interleaved_batch_lu_kernelILj128E21rocsparse_complex_numIfEEEviiiPT0_S4_S4_S4_PiS4_
	.p2align	8
	.type	_ZN9rocsparseL32gtsv_interleaved_batch_lu_kernelILj128E21rocsparse_complex_numIfEEEviiiPT0_S4_S4_S4_PiS4_,@function
_ZN9rocsparseL32gtsv_interleaved_batch_lu_kernelILj128E21rocsparse_complex_numIfEEEviiiPT0_S4_S4_S4_PiS4_: ; @_ZN9rocsparseL32gtsv_interleaved_batch_lu_kernelILj128E21rocsparse_complex_numIfEEEviiiPT0_S4_S4_S4_PiS4_
; %bb.0:
	s_load_dwordx4 s[16:19], s[4:5], 0x0
	s_lshl_b32 s1, s6, 7
	s_mov_b32 s0, exec_lo
	v_or_b32_e32 v1, s1, v0
	s_waitcnt lgkmcnt(0)
	v_cmpx_gt_i32_e64 s17, v1
	s_cbranch_execz .LBB7_31
; %bb.1:
	s_clause 0x1
	s_load_dwordx8 s[8:15], s[4:5], 0x18
	s_load_dwordx2 s[2:3], s[4:5], 0x38
	v_ashrrev_i32_e32 v2, 31, v1
	v_mov_b32_e32 v4, 0
	s_add_i32 s6, s16, -1
	s_cmp_lt_i32 s16, 2
	v_lshlrev_b64 v[2:3], 2, v[1:2]
	s_waitcnt lgkmcnt(0)
	v_add_co_u32 v2, vcc_lo, s14, v2
	v_add_co_ci_u32_e64 v3, null, s15, v3, vcc_lo
	global_store_dword v[2:3], v4, off
	s_cbranch_scc1 .LBB7_28
; %bb.2:
	s_load_dwordx2 s[4:5], s[4:5], 0x10
	s_mov_b32 s7, 0
	s_branch .LBB7_4
.LBB7_3:                                ;   in Loop: Header=BB7_4 Depth=1
	s_or_b32 exec_lo, exec_lo, s19
	v_add_co_u32 v4, vcc_lo, s10, v4
	v_add_co_ci_u32_e64 v5, null, s11, v5, vcc_lo
	s_cmp_lg_u32 s0, s6
	s_mov_b32 s7, s0
	global_store_dword v[4:5], v17, off offset:4
	s_cbranch_scc0 .LBB7_20
.LBB7_4:                                ; =>This Inner Loop Header: Depth=1
	v_mad_u64_u32 v[4:5], null, s7, s18, v[1:2]
                                        ; implicit-def: $vgpr16
	s_mov_b32 s0, exec_lo
	v_ashrrev_i32_e32 v5, 31, v4
	v_add_nc_u32_e32 v6, s18, v4
	v_lshlrev_b64 v[12:13], 3, v[4:5]
	v_ashrrev_i32_e32 v7, 31, v6
	v_lshlrev_b64 v[4:5], 3, v[6:7]
	v_add_co_u32 v14, vcc_lo, s8, v12
	v_add_co_ci_u32_e64 v15, null, s9, v13, vcc_lo
	s_waitcnt lgkmcnt(0)
	v_add_co_u32 v6, vcc_lo, s4, v4
	global_load_dwordx2 v[10:11], v[14:15], off
	v_add_co_ci_u32_e64 v7, null, s5, v5, vcc_lo
	global_load_dwordx2 v[8:9], v[6:7], off
	s_waitcnt vmcnt(1)
	v_cmp_gt_f32_e32 vcc_lo, 0, v10
	v_cndmask_b32_e64 v17, v10, -v10, vcc_lo
	v_cmp_gt_f32_e32 vcc_lo, 0, v11
	v_cndmask_b32_e64 v18, v11, -v11, vcc_lo
	v_cmpx_ngt_f32_e32 v17, v18
	s_xor_b32 s19, exec_lo, s0
	s_cbranch_execz .LBB7_8
; %bb.5:                                ;   in Loop: Header=BB7_4 Depth=1
	v_mov_b32_e32 v16, 0
	s_mov_b32 s20, exec_lo
	v_cmpx_neq_f32_e32 0, v11
	s_cbranch_execz .LBB7_7
; %bb.6:                                ;   in Loop: Header=BB7_4 Depth=1
	v_div_scale_f32 v16, null, v18, v18, v17
	v_div_scale_f32 v21, vcc_lo, v17, v18, v17
	v_rcp_f32_e32 v19, v16
	v_fma_f32 v20, -v16, v19, 1.0
	v_fmac_f32_e32 v19, v20, v19
	v_mul_f32_e32 v20, v21, v19
	v_fma_f32 v22, -v16, v20, v21
	v_fmac_f32_e32 v20, v22, v19
	v_fma_f32 v16, -v16, v20, v21
	v_div_fmas_f32 v16, v16, v19, v20
	v_div_fixup_f32 v16, v16, v18, v17
	v_fma_f32 v16, v16, v16, 1.0
	v_mul_f32_e32 v17, 0x4f800000, v16
	v_cmp_gt_f32_e32 vcc_lo, 0xf800000, v16
	v_cndmask_b32_e32 v16, v16, v17, vcc_lo
	v_sqrt_f32_e32 v17, v16
	v_add_nc_u32_e32 v19, -1, v17
	v_add_nc_u32_e32 v20, 1, v17
	v_fma_f32 v21, -v19, v17, v16
	v_fma_f32 v22, -v20, v17, v16
	v_cmp_ge_f32_e64 s0, 0, v21
	v_cndmask_b32_e64 v17, v17, v19, s0
	v_cmp_lt_f32_e64 s0, 0, v22
	v_cndmask_b32_e64 v17, v17, v20, s0
	v_mul_f32_e32 v19, 0x37800000, v17
	v_cndmask_b32_e32 v17, v17, v19, vcc_lo
	v_cmp_class_f32_e64 vcc_lo, v16, 0x260
	v_cndmask_b32_e32 v16, v17, v16, vcc_lo
	v_mul_f32_e32 v16, v18, v16
.LBB7_7:                                ;   in Loop: Header=BB7_4 Depth=1
	s_or_b32 exec_lo, exec_lo, s20
                                        ; implicit-def: $vgpr17
                                        ; implicit-def: $vgpr18
.LBB7_8:                                ;   in Loop: Header=BB7_4 Depth=1
	s_andn2_saveexec_b32 s19, s19
	s_cbranch_execz .LBB7_10
; %bb.9:                                ;   in Loop: Header=BB7_4 Depth=1
	v_div_scale_f32 v16, null, v17, v17, v18
	v_div_scale_f32 v21, vcc_lo, v18, v17, v18
	v_rcp_f32_e32 v19, v16
	v_fma_f32 v20, -v16, v19, 1.0
	v_fmac_f32_e32 v19, v20, v19
	v_mul_f32_e32 v20, v21, v19
	v_fma_f32 v22, -v16, v20, v21
	v_fmac_f32_e32 v20, v22, v19
	v_fma_f32 v16, -v16, v20, v21
	v_div_fmas_f32 v16, v16, v19, v20
	v_div_fixup_f32 v16, v16, v17, v18
	v_fma_f32 v16, v16, v16, 1.0
	v_mul_f32_e32 v18, 0x4f800000, v16
	v_cmp_gt_f32_e32 vcc_lo, 0xf800000, v16
	v_cndmask_b32_e32 v16, v16, v18, vcc_lo
	v_sqrt_f32_e32 v18, v16
	v_add_nc_u32_e32 v19, -1, v18
	v_add_nc_u32_e32 v20, 1, v18
	v_fma_f32 v21, -v19, v18, v16
	v_fma_f32 v22, -v20, v18, v16
	v_cmp_ge_f32_e64 s0, 0, v21
	v_cndmask_b32_e64 v18, v18, v19, s0
	v_cmp_lt_f32_e64 s0, 0, v22
	v_cndmask_b32_e64 v18, v18, v20, s0
	v_mul_f32_e32 v19, 0x37800000, v18
	v_cndmask_b32_e32 v18, v18, v19, vcc_lo
	v_cmp_class_f32_e64 vcc_lo, v16, 0x260
	v_cndmask_b32_e32 v16, v18, v16, vcc_lo
	v_mul_f32_e32 v16, v17, v16
.LBB7_10:                               ;   in Loop: Header=BB7_4 Depth=1
	s_or_b32 exec_lo, exec_lo, s19
	s_waitcnt vmcnt(0)
	v_cmp_gt_f32_e32 vcc_lo, 0, v8
                                        ; implicit-def: $vgpr19
	s_mov_b32 s0, exec_lo
	v_cndmask_b32_e64 v17, v8, -v8, vcc_lo
	v_cmp_gt_f32_e32 vcc_lo, 0, v9
	v_cndmask_b32_e64 v18, v9, -v9, vcc_lo
	v_cmpx_ngt_f32_e32 v17, v18
	s_xor_b32 s19, exec_lo, s0
	s_cbranch_execz .LBB7_14
; %bb.11:                               ;   in Loop: Header=BB7_4 Depth=1
	v_mov_b32_e32 v19, 0
	s_mov_b32 s20, exec_lo
	v_cmpx_neq_f32_e32 0, v9
	s_cbranch_execz .LBB7_13
; %bb.12:                               ;   in Loop: Header=BB7_4 Depth=1
	v_div_scale_f32 v19, null, v18, v18, v17
	v_div_scale_f32 v22, vcc_lo, v17, v18, v17
	v_rcp_f32_e32 v20, v19
	v_fma_f32 v21, -v19, v20, 1.0
	v_fmac_f32_e32 v20, v21, v20
	v_mul_f32_e32 v21, v22, v20
	v_fma_f32 v23, -v19, v21, v22
	v_fmac_f32_e32 v21, v23, v20
	v_fma_f32 v19, -v19, v21, v22
	v_div_fmas_f32 v19, v19, v20, v21
	v_div_fixup_f32 v17, v19, v18, v17
	v_fma_f32 v17, v17, v17, 1.0
	v_mul_f32_e32 v19, 0x4f800000, v17
	v_cmp_gt_f32_e32 vcc_lo, 0xf800000, v17
	v_cndmask_b32_e32 v17, v17, v19, vcc_lo
	v_sqrt_f32_e32 v19, v17
	v_add_nc_u32_e32 v20, -1, v19
	v_add_nc_u32_e32 v21, 1, v19
	v_fma_f32 v22, -v20, v19, v17
	v_fma_f32 v23, -v21, v19, v17
	v_cmp_ge_f32_e64 s0, 0, v22
	v_cndmask_b32_e64 v19, v19, v20, s0
	v_cmp_lt_f32_e64 s0, 0, v23
	v_cndmask_b32_e64 v19, v19, v21, s0
	v_mul_f32_e32 v20, 0x37800000, v19
	v_cndmask_b32_e32 v19, v19, v20, vcc_lo
	v_cmp_class_f32_e64 vcc_lo, v17, 0x260
	v_cndmask_b32_e32 v17, v19, v17, vcc_lo
	v_mul_f32_e32 v19, v18, v17
.LBB7_13:                               ;   in Loop: Header=BB7_4 Depth=1
	s_or_b32 exec_lo, exec_lo, s20
                                        ; implicit-def: $vgpr17
                                        ; implicit-def: $vgpr18
.LBB7_14:                               ;   in Loop: Header=BB7_4 Depth=1
	s_andn2_saveexec_b32 s19, s19
	s_cbranch_execz .LBB7_16
; %bb.15:                               ;   in Loop: Header=BB7_4 Depth=1
	v_div_scale_f32 v19, null, v17, v17, v18
	v_div_scale_f32 v22, vcc_lo, v18, v17, v18
	v_rcp_f32_e32 v20, v19
	v_fma_f32 v21, -v19, v20, 1.0
	v_fmac_f32_e32 v20, v21, v20
	v_mul_f32_e32 v21, v22, v20
	v_fma_f32 v23, -v19, v21, v22
	v_fmac_f32_e32 v21, v23, v20
	v_fma_f32 v19, -v19, v21, v22
	v_div_fmas_f32 v19, v19, v20, v21
	v_div_fixup_f32 v18, v19, v17, v18
	v_fma_f32 v18, v18, v18, 1.0
	v_mul_f32_e32 v19, 0x4f800000, v18
	v_cmp_gt_f32_e32 vcc_lo, 0xf800000, v18
	v_cndmask_b32_e32 v18, v18, v19, vcc_lo
	v_sqrt_f32_e32 v19, v18
	v_add_nc_u32_e32 v20, -1, v19
	v_add_nc_u32_e32 v21, 1, v19
	v_fma_f32 v22, -v20, v19, v18
	v_fma_f32 v23, -v21, v19, v18
	v_cmp_ge_f32_e64 s0, 0, v22
	v_cndmask_b32_e64 v19, v19, v20, s0
	v_cmp_lt_f32_e64 s0, 0, v23
	v_cndmask_b32_e64 v19, v19, v21, s0
	v_mul_f32_e32 v20, 0x37800000, v19
	v_cndmask_b32_e32 v19, v19, v20, vcc_lo
	v_cmp_class_f32_e64 vcc_lo, v18, 0x260
	v_cndmask_b32_e32 v18, v19, v18, vcc_lo
	v_mul_f32_e32 v19, v17, v18
.LBB7_16:                               ;   in Loop: Header=BB7_4 Depth=1
	s_or_b32 exec_lo, exec_lo, s19
	v_cmp_nlt_f32_e32 vcc_lo, v16, v19
	v_mul_f32_e32 v16, v11, v9
	s_add_i32 s0, s7, 1
                                        ; implicit-def: $vgpr17
	s_and_saveexec_b32 s19, vcc_lo
	s_xor_b32 s19, exec_lo, s19
	s_cbranch_execz .LBB7_18
; %bb.17:                               ;   in Loop: Header=BB7_4 Depth=1
	v_mad_u64_u32 v[14:15], null, s7, s17, v[1:2]
	v_add_co_u32 v12, vcc_lo, s10, v12
	v_add_co_ci_u32_e64 v13, null, s11, v13, vcc_lo
	v_mul_f32_e32 v17, v11, v11
	v_mul_f32_e64 v11, v11, -v8
	v_ashrrev_i32_e32 v15, 31, v14
	v_fmac_f32_e32 v16, v8, v10
	s_mul_i32 s20, s0, s17
	v_fmac_f32_e32 v17, v10, v10
	v_fmac_f32_e32 v11, v9, v10
	v_lshlrev_b64 v[14:15], 3, v[14:15]
	s_ashr_i32 s21, s20, 31
	v_div_scale_f32 v26, null, v17, v17, 1.0
	s_lshl_b64 s[20:21], s[20:21], 2
	v_add_co_u32 v14, vcc_lo, s12, v14
	v_add_co_ci_u32_e64 v15, null, s13, v15, vcc_lo
	v_add_co_u32 v18, vcc_lo, s8, v4
	global_load_dwordx2 v[12:13], v[12:13], off
	global_load_dwordx2 v[14:15], v[14:15], off
	v_add_co_ci_u32_e64 v19, null, s9, v5, vcc_lo
	v_add_co_u32 v20, vcc_lo, s10, v4
	v_add_co_ci_u32_e64 v21, null, s11, v5, vcc_lo
	global_load_dwordx2 v[22:23], v[18:19], off
	global_load_dwordx2 v[24:25], v[20:21], off
	v_rcp_f32_e32 v27, v26
	v_div_scale_f32 v29, vcc_lo, 1.0, v17, 1.0
	v_fma_f32 v28, -v26, v27, 1.0
	v_fmac_f32_e32 v27, v28, v27
	v_mul_f32_e32 v28, v29, v27
	v_fma_f32 v30, -v26, v28, v29
	v_fmac_f32_e32 v28, v30, v27
	v_fma_f32 v26, -v26, v28, v29
	v_div_fmas_f32 v26, v26, v27, v28
	v_add_co_u32 v10, vcc_lo, v2, s20
	v_div_fixup_f32 v17, v26, v17, 1.0
	v_mul_f32_e32 v9, v11, v17
	v_mul_f32_e32 v8, v16, v17
	v_add_co_ci_u32_e64 v11, null, s21, v3, vcc_lo
	s_waitcnt vmcnt(3)
	v_mul_f32_e64 v16, v13, -v9
	v_mul_f32_e32 v13, v8, v13
	s_waitcnt vmcnt(2)
	v_mul_f32_e64 v17, v15, -v9
	v_mul_f32_e32 v15, v8, v15
	v_fmac_f32_e32 v16, v8, v12
	v_fmac_f32_e32 v13, v9, v12
	;; [unrolled: 1-line block ×4, first 2 shown]
	v_mov_b32_e32 v14, s0
	s_waitcnt vmcnt(1)
	v_sub_f32_e32 v12, v22, v16
	v_sub_f32_e32 v13, v23, v13
	s_waitcnt vmcnt(0)
	v_sub_f32_e32 v16, v24, v17
	v_sub_f32_e32 v17, v25, v15
	global_store_dword v[10:11], v14, off
	global_store_dwordx2 v[6:7], v[8:9], off
	global_store_dwordx2 v[18:19], v[12:13], off
	global_store_dword v[20:21], v16, off
                                        ; implicit-def: $vgpr12_vgpr13
                                        ; implicit-def: $vgpr8_vgpr9
                                        ; implicit-def: $vgpr14_vgpr15
                                        ; implicit-def: $vgpr10_vgpr11
                                        ; implicit-def: $vgpr16
                                        ; implicit-def: $vgpr6_vgpr7
.LBB7_18:                               ;   in Loop: Header=BB7_4 Depth=1
	s_andn2_saveexec_b32 s19, s19
	s_cbranch_execz .LBB7_3
; %bb.19:                               ;   in Loop: Header=BB7_4 Depth=1
	s_mul_i32 s20, s7, s17
	v_add_co_u32 v20, vcc_lo, s8, v4
	v_add_nc_u32_e32 v17, s20, v1
	v_add_co_ci_u32_e64 v21, null, s9, v5, vcc_lo
	s_ashr_i32 s21, s20, 31
	v_mul_f32_e32 v43, v9, v9
	v_ashrrev_i32_e32 v18, 31, v17
	s_lshl_b64 s[20:21], s[20:21], 2
	v_fmac_f32_e32 v16, v10, v8
	v_fmac_f32_e32 v43, v8, v8
	v_lshlrev_b64 v[18:19], 3, v[17:18]
	v_div_scale_f32 v40, null, v43, v43, 1.0
	v_add_co_u32 v18, vcc_lo, s12, v18
	v_add_co_ci_u32_e64 v19, null, s13, v19, vcc_lo
	v_add_co_u32 v26, vcc_lo, s10, v12
	global_load_dwordx2 v[22:23], v[20:21], off
	global_load_dwordx2 v[24:25], v[18:19], off
	v_add_co_ci_u32_e64 v27, null, s11, v13, vcc_lo
	v_add_co_u32 v28, vcc_lo, s10, v4
	v_add_co_ci_u32_e64 v29, null, s11, v5, vcc_lo
	s_clause 0x1
	global_load_dwordx2 v[32:33], v[26:27], off
	global_load_dwordx2 v[34:35], v[28:29], off
	v_add_co_u32 v30, vcc_lo, s2, v4
	v_add_co_ci_u32_e64 v31, null, s3, v5, vcc_lo
	v_add_co_u32 v12, vcc_lo, s2, v12
	v_add_co_ci_u32_e64 v13, null, s3, v13, vcc_lo
	v_add_co_u32 v36, vcc_lo, v2, s20
	v_add_co_ci_u32_e64 v37, null, s21, v3, vcc_lo
	v_rcp_f32_e32 v41, v40
	v_div_scale_f32 v45, vcc_lo, 1.0, v43, 1.0
	s_waitcnt vmcnt(3)
	global_store_dwordx2 v[26:27], v[22:23], off
	s_waitcnt vmcnt(2)
	global_store_dwordx2 v[28:29], v[24:25], off
	global_load_dwordx2 v[22:23], v[26:27], off
	s_clause 0x1
	global_load_dwordx2 v[26:27], v[30:31], off
	global_load_dwordx2 v[38:39], v[12:13], off
	global_load_dword v42, v[36:37], off
	v_fma_f32 v44, -v40, v41, 1.0
	v_fmac_f32_e32 v41, v44, v41
	v_mul_f32_e32 v44, v45, v41
	v_fma_f32 v46, -v40, v44, v45
	v_fmac_f32_e32 v44, v46, v41
	v_fma_f32 v45, -v40, v44, v45
	v_add_nc_u32_e32 v40, s17, v17
	v_div_fmas_f32 v17, v45, v41, v44
	v_mul_f32_e64 v44, v9, -v10
	v_mov_b32_e32 v45, s0
	global_store_dwordx2 v[14:15], v[8:9], off
	global_store_dword v[36:37], v45, off
	v_div_fixup_f32 v17, v17, v43, 1.0
	v_fmac_f32_e32 v44, v11, v8
	v_ashrrev_i32_e32 v41, 31, v40
	s_waitcnt vmcnt(4)
	global_store_dwordx2 v[18:19], v[34:35], off
	v_mul_f32_e32 v8, v17, v16
	v_mul_f32_e32 v9, v44, v17
	v_lshlrev_b64 v[10:11], 2, v[40:41]
	v_mul_f32_e32 v15, v8, v35
	global_store_dwordx2 v[6:7], v[8:9], off
	v_mul_f32_e64 v14, v35, -v9
	v_add_co_u32 v10, vcc_lo, s14, v10
	v_fmac_f32_e32 v15, v9, v34
	v_add_co_ci_u32_e64 v11, null, s15, v11, vcc_lo
	v_fmac_f32_e32 v14, v8, v34
	v_sub_f32_e32 v17, v25, v15
	s_waitcnt vmcnt(3)
	v_mul_f32_e64 v6, v23, -v9
	v_mul_f32_e32 v7, v8, v23
	s_waitcnt vmcnt(2)
	global_store_dwordx2 v[12:13], v[26:27], off
	v_fmac_f32_e32 v6, v8, v22
	v_fmac_f32_e32 v7, v9, v22
	v_sub_f32_e32 v8, v24, v14
	v_sub_f32_e32 v6, v32, v6
	;; [unrolled: 1-line block ×3, first 2 shown]
	s_waitcnt vmcnt(1)
	global_store_dwordx2 v[30:31], v[38:39], off
	s_waitcnt vmcnt(0)
	global_store_dword v[10:11], v42, off
	global_store_dwordx2 v[20:21], v[6:7], off
	global_store_dword v[28:29], v8, off
	s_branch .LBB7_3
.LBB7_20:
	v_mov_b32_e32 v4, 0
	s_mov_b32 s0, 1
	s_branch .LBB7_23
.LBB7_21:                               ;   in Loop: Header=BB7_23 Depth=1
	s_or_b32 exec_lo, exec_lo, s14
	v_mad_u64_u32 v[7:8], null, s0, s18, v[1:2]
	v_mov_b32_e32 v4, s0
	v_ashrrev_i32_e32 v8, 31, v7
	v_lshlrev_b64 v[7:8], 3, v[7:8]
	v_add_co_u32 v7, vcc_lo, s2, v7
	v_add_co_ci_u32_e64 v8, null, s3, v8, vcc_lo
	global_load_dwordx2 v[9:10], v[7:8], off
	s_waitcnt vmcnt(0)
	v_add_f32_e32 v9, v6, v9
	v_add_f32_e32 v10, v5, v10
	global_store_dwordx2 v[7:8], v[9:10], off
.LBB7_22:                               ;   in Loop: Header=BB7_23 Depth=1
	s_or_b32 exec_lo, exec_lo, s7
	s_add_i32 s0, s0, 1
	s_cmp_eq_u32 s0, s16
	s_cbranch_scc1 .LBB7_28
.LBB7_23:                               ; =>This Loop Header: Depth=1
                                        ;     Child Loop BB7_26 Depth 2
	s_mul_i32 s14, s0, s17
	s_mov_b32 s7, exec_lo
	s_ashr_i32 s15, s14, 31
	s_lshl_b64 s[14:15], s[14:15], 2
	v_add_co_u32 v5, vcc_lo, v2, s14
	v_add_co_ci_u32_e64 v6, null, s15, v3, vcc_lo
	global_load_dword v5, v[5:6], off
	s_waitcnt vmcnt(0)
	v_cmpx_ge_i32_e64 s0, v5
	s_cbranch_execz .LBB7_22
; %bb.24:                               ;   in Loop: Header=BB7_23 Depth=1
	v_mov_b32_e32 v5, 0
	v_mov_b32_e32 v6, 0
	s_mov_b32 s14, exec_lo
	v_cmpx_gt_u32_e64 s0, v4
	s_cbranch_execz .LBB7_21
; %bb.25:                               ;   in Loop: Header=BB7_23 Depth=1
	v_mul_lo_u32 v7, s18, v4
	v_mov_b32_e32 v5, 0
	v_mov_b32_e32 v8, v1
	;; [unrolled: 1-line block ×3, first 2 shown]
	s_mov_b32 s15, 0
	v_add_nc_u32_e32 v9, s18, v7
	s_inst_prefetch 0x1
	.p2align	6
.LBB7_26:                               ;   Parent Loop BB7_23 Depth=1
                                        ; =>  This Inner Loop Header: Depth=2
	v_add_nc_u32_e32 v10, v9, v8
	v_add_nc_u32_e32 v12, v7, v8
	;; [unrolled: 1-line block ×4, first 2 shown]
	v_ashrrev_i32_e32 v11, 31, v10
	v_ashrrev_i32_e32 v13, 31, v12
	v_lshlrev_b64 v[10:11], 3, v[10:11]
	v_lshlrev_b64 v[12:13], 3, v[12:13]
	v_add_co_u32 v10, vcc_lo, s4, v10
	v_add_co_ci_u32_e64 v11, null, s5, v11, vcc_lo
	v_add_co_u32 v12, vcc_lo, s2, v12
	v_add_co_ci_u32_e64 v13, null, s3, v13, vcc_lo
	global_load_dwordx2 v[10:11], v[10:11], off
	global_load_dwordx2 v[12:13], v[12:13], off
	v_cmp_le_u32_e32 vcc_lo, s0, v4
	s_or_b32 s15, vcc_lo, s15
	s_waitcnt vmcnt(0)
	v_mul_f32_e64 v14, v13, -v11
	v_mul_f32_e32 v13, v13, v10
	v_fmac_f32_e32 v14, v10, v12
	v_fmac_f32_e32 v13, v11, v12
	v_sub_f32_e32 v6, v6, v14
	v_sub_f32_e32 v5, v5, v13
	s_andn2_b32 exec_lo, exec_lo, s15
	s_cbranch_execnz .LBB7_26
; %bb.27:                               ;   in Loop: Header=BB7_23 Depth=1
	s_inst_prefetch 0x2
	s_or_b32 exec_lo, exec_lo, s15
	s_branch .LBB7_21
.LBB7_28:
	s_mul_i32 s0, s18, s6
	v_add_nc_u32_e32 v2, s0, v1
	s_sub_i32 s4, s0, s18
	s_cmp_lt_i32 s16, 3
	v_add_nc_u32_e32 v8, s4, v1
	v_ashrrev_i32_e32 v3, 31, v2
	v_ashrrev_i32_e32 v9, 31, v8
	v_lshlrev_b64 v[2:3], 3, v[2:3]
	v_lshlrev_b64 v[8:9], 3, v[8:9]
	v_add_co_u32 v4, vcc_lo, s8, v2
	v_add_co_ci_u32_e64 v5, null, s9, v3, vcc_lo
	v_add_co_u32 v2, vcc_lo, s2, v2
	v_add_co_ci_u32_e64 v3, null, s3, v3, vcc_lo
	global_load_dwordx2 v[4:5], v[4:5], off
	v_add_co_u32 v10, vcc_lo, s8, v8
	global_load_dwordx2 v[6:7], v[2:3], off
	v_add_co_ci_u32_e64 v11, null, s9, v9, vcc_lo
	global_load_dwordx2 v[10:11], v[10:11], off
	s_waitcnt vmcnt(2)
	v_mul_f32_e32 v14, v5, v5
	v_fmac_f32_e32 v14, v4, v4
	v_div_scale_f32 v12, null, v14, v14, 1.0
	v_div_scale_f32 v16, vcc_lo, 1.0, v14, 1.0
	v_rcp_f32_e32 v13, v12
	v_fma_f32 v15, -v12, v13, 1.0
	v_fmac_f32_e32 v13, v15, v13
	v_mul_f32_e32 v15, v16, v13
	v_fma_f32 v17, -v12, v15, v16
	v_fmac_f32_e32 v15, v17, v13
	s_waitcnt vmcnt(1)
	v_mul_f32_e64 v17, v5, -v6
	v_fma_f32 v12, -v12, v15, v16
	v_mul_f32_e32 v16, v5, v7
	v_fmac_f32_e32 v17, v7, v4
	v_div_fmas_f32 v5, v12, v13, v15
	v_add_co_u32 v12, vcc_lo, s10, v8
	v_add_co_ci_u32_e64 v13, null, s11, v9, vcc_lo
	v_fmac_f32_e32 v16, v6, v4
	v_div_fixup_f32 v14, v5, v14, 1.0
	v_add_co_u32 v8, vcc_lo, s2, v8
	global_load_dwordx2 v[4:5], v[12:13], off
	v_add_co_ci_u32_e64 v9, null, s3, v9, vcc_lo
	v_mul_f32_e32 v6, v14, v16
	v_mul_f32_e32 v7, v17, v14
	s_waitcnt vmcnt(1)
	v_mul_f32_e32 v12, v11, v11
	global_store_dwordx2 v[2:3], v[6:7], off
	global_load_dwordx2 v[2:3], v[8:9], off
	v_fmac_f32_e32 v12, v10, v10
	v_div_scale_f32 v13, null, v12, v12, 1.0
	v_div_scale_f32 v16, vcc_lo, 1.0, v12, 1.0
	v_rcp_f32_e32 v14, v13
	v_fma_f32 v15, -v13, v14, 1.0
	v_fmac_f32_e32 v14, v15, v14
	v_mul_f32_e32 v15, v16, v14
	v_fma_f32 v17, -v13, v15, v16
	v_fmac_f32_e32 v15, v17, v14
	s_waitcnt vmcnt(1)
	v_mul_f32_e32 v18, v7, v4
	v_mul_f32_e64 v7, v7, -v5
	v_fmac_f32_e32 v18, v5, v6
	v_fmac_f32_e32 v7, v4, v6
	v_fma_f32 v4, -v13, v15, v16
	s_waitcnt vmcnt(0)
	v_sub_f32_e32 v3, v3, v18
	v_sub_f32_e32 v2, v2, v7
	v_div_fmas_f32 v4, v4, v14, v15
	v_mul_f32_e32 v5, v11, v3
	v_mul_f32_e64 v6, v11, -v2
	v_div_fixup_f32 v4, v4, v12, 1.0
	v_fmac_f32_e32 v5, v2, v10
	v_fmac_f32_e32 v6, v3, v10
	v_mul_f32_e32 v2, v4, v5
	v_mul_f32_e32 v3, v6, v4
	global_store_dwordx2 v[8:9], v[2:3], off
	s_cbranch_scc1 .LBB7_31
; %bb.29:
	s_add_i32 s5, s16, -3
	s_add_i32 s4, s16, -2
	s_mul_i32 s6, s17, s5
	s_mul_i32 s5, s18, s5
	v_add3_u32 v2, s1, s6, v0
	s_mul_i32 s1, s18, s4
.LBB7_30:                               ; =>This Inner Loop Header: Depth=1
	v_add_nc_u32_e32 v4, s5, v1
	v_ashrrev_i32_e32 v3, 31, v2
	v_add_nc_u32_e32 v6, s1, v1
	v_add_nc_u32_e32 v8, s0, v1
	v_subrev_nc_u32_e32 v1, s18, v1
	v_ashrrev_i32_e32 v5, 31, v4
	v_lshlrev_b64 v[12:13], 3, v[2:3]
	v_ashrrev_i32_e32 v7, 31, v6
	v_ashrrev_i32_e32 v9, 31, v8
	v_subrev_nc_u32_e32 v2, s17, v2
	v_lshlrev_b64 v[4:5], 3, v[4:5]
	s_add_i32 s4, s4, -1
	v_lshlrev_b64 v[6:7], 3, v[6:7]
	v_lshlrev_b64 v[8:9], 3, v[8:9]
	s_cmp_lg_u32 s4, 0
	v_add_co_u32 v10, vcc_lo, s8, v4
	v_add_co_ci_u32_e64 v11, null, s9, v5, vcc_lo
	v_add_co_u32 v12, vcc_lo, s12, v12
	v_add_co_ci_u32_e64 v13, null, s13, v13, vcc_lo
	global_load_dwordx2 v[10:11], v[10:11], off
	v_add_co_u32 v14, vcc_lo, s2, v4
	v_add_co_ci_u32_e64 v15, null, s3, v5, vcc_lo
	v_add_co_u32 v3, vcc_lo, s10, v4
	v_add_co_ci_u32_e64 v4, null, s11, v5, vcc_lo
	v_add_co_u32 v5, vcc_lo, s2, v6
	v_add_co_ci_u32_e64 v6, null, s3, v7, vcc_lo
	v_add_co_u32 v7, vcc_lo, s2, v8
	v_add_co_ci_u32_e64 v8, null, s3, v9, vcc_lo
	global_load_dwordx2 v[12:13], v[12:13], off
	global_load_dwordx2 v[3:4], v[3:4], off
	s_clause 0x2
	global_load_dwordx2 v[5:6], v[5:6], off
	global_load_dwordx2 v[7:8], v[7:8], off
	;; [unrolled: 1-line block ×3, first 2 shown]
	s_waitcnt vmcnt(5)
	v_mul_f32_e32 v0, v11, v11
	v_fmac_f32_e32 v0, v10, v10
	v_div_scale_f32 v9, null, v0, v0, 1.0
	v_div_scale_f32 v22, vcc_lo, 1.0, v0, 1.0
	v_rcp_f32_e32 v18, v9
	s_waitcnt vmcnt(2)
	v_mul_f32_e64 v19, v6, -v4
	v_mul_f32_e32 v6, v6, v3
	s_waitcnt vmcnt(1)
	v_mul_f32_e64 v21, v8, -v13
	v_mul_f32_e32 v8, v8, v12
	v_fmac_f32_e32 v19, v3, v5
	v_fmac_f32_e32 v6, v4, v5
	;; [unrolled: 1-line block ×4, first 2 shown]
	v_fma_f32 v20, -v9, v18, 1.0
	s_waitcnt vmcnt(0)
	v_sub_f32_e32 v4, v17, v6
	v_sub_f32_e32 v6, v16, v19
	v_fmac_f32_e32 v18, v20, v18
	v_sub_f32_e32 v4, v4, v8
	v_mul_f32_e32 v3, v22, v18
	v_fma_f32 v5, -v9, v3, v22
	v_fmac_f32_e32 v3, v5, v18
	v_sub_f32_e32 v5, v6, v21
	v_mul_f32_e32 v6, v11, v4
	v_fma_f32 v7, -v9, v3, v22
	v_mul_f32_e64 v8, v11, -v5
	v_fmac_f32_e32 v6, v5, v10
	v_div_fmas_f32 v3, v7, v18, v3
	v_fmac_f32_e32 v8, v4, v10
	v_div_fixup_f32 v0, v3, v0, 1.0
	v_mul_f32_e32 v3, v0, v6
	v_mul_f32_e32 v4, v0, v8
	global_store_dwordx2 v[14:15], v[3:4], off
	s_cbranch_scc1 .LBB7_30
.LBB7_31:
	s_endpgm
	.section	.rodata,"a",@progbits
	.p2align	6, 0x0
	.amdhsa_kernel _ZN9rocsparseL32gtsv_interleaved_batch_lu_kernelILj128E21rocsparse_complex_numIfEEEviiiPT0_S4_S4_S4_PiS4_
		.amdhsa_group_segment_fixed_size 0
		.amdhsa_private_segment_fixed_size 0
		.amdhsa_kernarg_size 64
		.amdhsa_user_sgpr_count 6
		.amdhsa_user_sgpr_private_segment_buffer 1
		.amdhsa_user_sgpr_dispatch_ptr 0
		.amdhsa_user_sgpr_queue_ptr 0
		.amdhsa_user_sgpr_kernarg_segment_ptr 1
		.amdhsa_user_sgpr_dispatch_id 0
		.amdhsa_user_sgpr_flat_scratch_init 0
		.amdhsa_user_sgpr_private_segment_size 0
		.amdhsa_wavefront_size32 1
		.amdhsa_uses_dynamic_stack 0
		.amdhsa_system_sgpr_private_segment_wavefront_offset 0
		.amdhsa_system_sgpr_workgroup_id_x 1
		.amdhsa_system_sgpr_workgroup_id_y 0
		.amdhsa_system_sgpr_workgroup_id_z 0
		.amdhsa_system_sgpr_workgroup_info 0
		.amdhsa_system_vgpr_workitem_id 0
		.amdhsa_next_free_vgpr 47
		.amdhsa_next_free_sgpr 22
		.amdhsa_reserve_vcc 1
		.amdhsa_reserve_flat_scratch 0
		.amdhsa_float_round_mode_32 0
		.amdhsa_float_round_mode_16_64 0
		.amdhsa_float_denorm_mode_32 3
		.amdhsa_float_denorm_mode_16_64 3
		.amdhsa_dx10_clamp 1
		.amdhsa_ieee_mode 1
		.amdhsa_fp16_overflow 0
		.amdhsa_workgroup_processor_mode 1
		.amdhsa_memory_ordered 1
		.amdhsa_forward_progress 1
		.amdhsa_shared_vgpr_count 0
		.amdhsa_exception_fp_ieee_invalid_op 0
		.amdhsa_exception_fp_denorm_src 0
		.amdhsa_exception_fp_ieee_div_zero 0
		.amdhsa_exception_fp_ieee_overflow 0
		.amdhsa_exception_fp_ieee_underflow 0
		.amdhsa_exception_fp_ieee_inexact 0
		.amdhsa_exception_int_div_zero 0
	.end_amdhsa_kernel
	.section	.text._ZN9rocsparseL32gtsv_interleaved_batch_lu_kernelILj128E21rocsparse_complex_numIfEEEviiiPT0_S4_S4_S4_PiS4_,"axG",@progbits,_ZN9rocsparseL32gtsv_interleaved_batch_lu_kernelILj128E21rocsparse_complex_numIfEEEviiiPT0_S4_S4_S4_PiS4_,comdat
.Lfunc_end7:
	.size	_ZN9rocsparseL32gtsv_interleaved_batch_lu_kernelILj128E21rocsparse_complex_numIfEEEviiiPT0_S4_S4_S4_PiS4_, .Lfunc_end7-_ZN9rocsparseL32gtsv_interleaved_batch_lu_kernelILj128E21rocsparse_complex_numIfEEEviiiPT0_S4_S4_S4_PiS4_
                                        ; -- End function
	.set _ZN9rocsparseL32gtsv_interleaved_batch_lu_kernelILj128E21rocsparse_complex_numIfEEEviiiPT0_S4_S4_S4_PiS4_.num_vgpr, 47
	.set _ZN9rocsparseL32gtsv_interleaved_batch_lu_kernelILj128E21rocsparse_complex_numIfEEEviiiPT0_S4_S4_S4_PiS4_.num_agpr, 0
	.set _ZN9rocsparseL32gtsv_interleaved_batch_lu_kernelILj128E21rocsparse_complex_numIfEEEviiiPT0_S4_S4_S4_PiS4_.numbered_sgpr, 22
	.set _ZN9rocsparseL32gtsv_interleaved_batch_lu_kernelILj128E21rocsparse_complex_numIfEEEviiiPT0_S4_S4_S4_PiS4_.num_named_barrier, 0
	.set _ZN9rocsparseL32gtsv_interleaved_batch_lu_kernelILj128E21rocsparse_complex_numIfEEEviiiPT0_S4_S4_S4_PiS4_.private_seg_size, 0
	.set _ZN9rocsparseL32gtsv_interleaved_batch_lu_kernelILj128E21rocsparse_complex_numIfEEEviiiPT0_S4_S4_S4_PiS4_.uses_vcc, 1
	.set _ZN9rocsparseL32gtsv_interleaved_batch_lu_kernelILj128E21rocsparse_complex_numIfEEEviiiPT0_S4_S4_S4_PiS4_.uses_flat_scratch, 0
	.set _ZN9rocsparseL32gtsv_interleaved_batch_lu_kernelILj128E21rocsparse_complex_numIfEEEviiiPT0_S4_S4_S4_PiS4_.has_dyn_sized_stack, 0
	.set _ZN9rocsparseL32gtsv_interleaved_batch_lu_kernelILj128E21rocsparse_complex_numIfEEEviiiPT0_S4_S4_S4_PiS4_.has_recursion, 0
	.set _ZN9rocsparseL32gtsv_interleaved_batch_lu_kernelILj128E21rocsparse_complex_numIfEEEviiiPT0_S4_S4_S4_PiS4_.has_indirect_call, 0
	.section	.AMDGPU.csdata,"",@progbits
; Kernel info:
; codeLenInByte = 3348
; TotalNumSgprs: 24
; NumVgprs: 47
; ScratchSize: 0
; MemoryBound: 0
; FloatMode: 240
; IeeeMode: 1
; LDSByteSize: 0 bytes/workgroup (compile time only)
; SGPRBlocks: 0
; VGPRBlocks: 5
; NumSGPRsForWavesPerEU: 24
; NumVGPRsForWavesPerEU: 47
; Occupancy: 16
; WaveLimiterHint : 0
; COMPUTE_PGM_RSRC2:SCRATCH_EN: 0
; COMPUTE_PGM_RSRC2:USER_SGPR: 6
; COMPUTE_PGM_RSRC2:TRAP_HANDLER: 0
; COMPUTE_PGM_RSRC2:TGID_X_EN: 1
; COMPUTE_PGM_RSRC2:TGID_Y_EN: 0
; COMPUTE_PGM_RSRC2:TGID_Z_EN: 0
; COMPUTE_PGM_RSRC2:TIDIG_COMP_CNT: 0
	.section	.text._ZN9rocsparseL32gtsv_interleaved_batch_qr_kernelILj128E21rocsparse_complex_numIfEEEviiiPKT0_PS3_S6_S6_S6_,"axG",@progbits,_ZN9rocsparseL32gtsv_interleaved_batch_qr_kernelILj128E21rocsparse_complex_numIfEEEviiiPKT0_PS3_S6_S6_S6_,comdat
	.globl	_ZN9rocsparseL32gtsv_interleaved_batch_qr_kernelILj128E21rocsparse_complex_numIfEEEviiiPKT0_PS3_S6_S6_S6_ ; -- Begin function _ZN9rocsparseL32gtsv_interleaved_batch_qr_kernelILj128E21rocsparse_complex_numIfEEEviiiPKT0_PS3_S6_S6_S6_
	.p2align	8
	.type	_ZN9rocsparseL32gtsv_interleaved_batch_qr_kernelILj128E21rocsparse_complex_numIfEEEviiiPKT0_PS3_S6_S6_S6_,@function
_ZN9rocsparseL32gtsv_interleaved_batch_qr_kernelILj128E21rocsparse_complex_numIfEEEviiiPKT0_PS3_S6_S6_S6_: ; @_ZN9rocsparseL32gtsv_interleaved_batch_qr_kernelILj128E21rocsparse_complex_numIfEEEviiiPKT0_PS3_S6_S6_S6_
; %bb.0:
	s_load_dwordx4 s[16:19], s[4:5], 0x0
	s_lshl_b32 s1, s6, 7
	s_mov_b32 s0, exec_lo
	v_or_b32_e32 v1, s1, v0
	s_waitcnt lgkmcnt(0)
	v_cmpx_gt_i32_e64 s17, v1
	s_cbranch_execz .LBB8_13
; %bb.1:
	s_load_dwordx8 s[8:15], s[4:5], 0x18
	s_add_i32 s6, s16, -1
	s_cmp_lt_i32 s16, 2
	s_cbranch_scc1 .LBB8_10
; %bb.2:
	v_ashrrev_i32_e32 v2, 31, v1
	s_load_dwordx2 s[2:3], s[4:5], 0x10
	v_mov_b32_e32 v18, v1
	s_mov_b32 s4, s6
	v_lshlrev_b64 v[2:3], 3, v[1:2]
	s_waitcnt lgkmcnt(0)
	v_add_co_u32 v4, vcc_lo, s8, v2
	v_add_co_ci_u32_e64 v5, null, s9, v3, vcc_lo
	v_add_co_u32 v6, vcc_lo, s10, v2
	v_add_co_ci_u32_e64 v7, null, s11, v3, vcc_lo
	global_load_dwordx2 v[2:3], v[4:5], off
	global_load_dwordx2 v[4:5], v[6:7], off
	v_mov_b32_e32 v6, v1
	s_branch .LBB8_4
.LBB8_3:                                ;   in Loop: Header=BB8_4 Depth=1
	s_or_b32 exec_lo, exec_lo, s5
	v_ashrrev_i32_e32 v19, 31, v18
	v_add_co_u32 v21, vcc_lo, s14, v21
	v_add_co_ci_u32_e64 v22, null, s15, v22, vcc_lo
	v_lshlrev_b64 v[23:24], 3, v[18:19]
	v_mul_f32_e32 v18, 0x4f800000, v7
	v_mul_f32_e32 v38, 0x80000000, v2
	global_load_dwordx2 v[25:26], v[21:22], off
	v_mul_f32_e32 v40, 0x80000000, v14
	v_mul_f32_e32 v37, 0x80000000, v3
	v_add_co_u32 v27, vcc_lo, s14, v23
	v_add_co_ci_u32_e64 v28, null, s15, v24, vcc_lo
	v_cmp_gt_f32_e32 vcc_lo, 0xf800000, v7
	v_mul_f32_e32 v39, 0x80000000, v15
	s_add_i32 s4, s4, -1
	global_load_dwordx2 v[29:30], v[27:28], off
	s_cmp_eq_u32 s4, 0
	v_cndmask_b32_e32 v7, v7, v18, vcc_lo
	v_sqrt_f32_e32 v18, v7
	v_add_nc_u32_e32 v19, -1, v18
	v_add_nc_u32_e32 v31, 1, v18
	v_fma_f32 v32, -v19, v18, v7
	v_fma_f32 v33, -v31, v18, v7
	v_cmp_ge_f32_e64 s0, 0, v32
	v_cndmask_b32_e64 v18, v18, v19, s0
	v_cmp_lt_f32_e64 s0, 0, v33
	v_cndmask_b32_e64 v18, v18, v31, s0
	v_mul_f32_e32 v19, 0x37800000, v18
	v_cndmask_b32_e32 v18, v18, v19, vcc_lo
	v_cmp_class_f32_e64 vcc_lo, v7, 0x260
	v_cndmask_b32_e32 v33, v18, v7, vcc_lo
	v_fma_f32 v34, v33, v33, 0
	v_fmac_f32_e32 v37, v2, v33
	v_fmac_f32_e32 v39, v14, v33
	v_div_scale_f32 v18, null, v34, v34, 1.0
	v_div_scale_f32 v35, vcc_lo, 1.0, v34, 1.0
	v_rcp_f32_e32 v19, v18
	v_fma_f32 v7, -v18, v19, 1.0
	v_fmac_f32_e32 v19, v7, v19
	v_ashrrev_i32_e32 v7, 31, v6
	v_mul_f32_e32 v36, v35, v19
	v_fma_f32 v31, -v18, v36, v35
	v_fmac_f32_e32 v36, v31, v19
	v_lshlrev_b64 v[31:32], 3, v[6:7]
	v_add_nc_u32_e32 v6, s17, v6
	v_fma_f32 v7, -v18, v36, v35
	v_fma_f32 v35, -v15, v33, v40
	v_mov_b32_e32 v18, v20
	v_div_fmas_f32 v7, v7, v19, v36
	v_add_co_u32 v19, vcc_lo, s8, v23
	v_add_co_ci_u32_e64 v20, null, s9, v24, vcc_lo
	v_div_fixup_f32 v7, v7, v34, 1.0
	v_fma_f32 v34, -v3, v33, v38
	v_add_co_u32 v23, vcc_lo, s10, v23
	v_add_co_ci_u32_e64 v24, null, s11, v24, vcc_lo
	v_mul_f32_e32 v38, v35, v7
	v_mul_f32_e32 v40, v34, v7
	;; [unrolled: 1-line block ×4, first 2 shown]
	v_add_co_u32 v31, vcc_lo, s12, v31
	v_mul_f32_e32 v33, v38, v14
	s_waitcnt vmcnt(3)
	v_mul_f32_e32 v39, v40, v17
	v_mul_f32_e64 v34, v38, -v15
	v_mul_f32_e64 v42, v16, -v40
	;; [unrolled: 1-line block ×3, first 2 shown]
	v_fmac_f32_e32 v33, v15, v7
	v_fmac_f32_e32 v39, v16, v41
	v_mul_f32_e32 v35, v38, v16
	s_waitcnt vmcnt(2)
	v_mul_f32_e64 v36, v38, -v13
	v_mul_f32_e32 v37, v38, v12
	v_fmac_f32_e32 v34, v14, v7
	v_fmac_f32_e32 v33, v3, v41
	v_fma_f32 v14, -v4, v7, v39
	v_add_co_ci_u32_e64 v32, null, s13, v32, vcc_lo
	v_fmac_f32_e32 v42, v17, v41
	v_fmac_f32_e32 v43, v16, v7
	v_fmac_f32_e32 v35, v17, v7
	v_fmac_f32_e32 v36, v12, v7
	v_fmac_f32_e32 v37, v13, v7
	v_fmac_f32_e32 v34, v2, v41
	v_fmac_f32_e32 v33, v2, v40
	v_fma_f32 v2, v5, -v38, v14
	v_fmac_f32_e32 v43, v4, v41
	v_fmac_f32_e32 v35, v5, v41
	global_store_dwordx2 v[31:32], v[36:37], off
	v_fma_f32 v32, -v3, v40, v34
	v_fma_f32 v3, -v5, v7, v42
	;; [unrolled: 1-line block ×3, first 2 shown]
	v_fmac_f32_e32 v35, v4, v40
	v_mul_f32_e64 v5, v12, -v40
	global_store_dwordx2 v[19:20], v[32:33], off
	v_fmac_f32_e32 v3, v4, v38
	v_mul_f32_e32 v4, v40, v13
	v_fmac_f32_e32 v5, v13, v41
	v_fmac_f32_e32 v4, v12, v41
	s_waitcnt vmcnt(1)
	v_mul_f32_e64 v15, v38, -v26
	v_mul_f32_e32 v14, v38, v25
	v_mul_f32_e32 v16, v40, v26
	v_mul_f32_e64 v17, -v40, v25
	v_fmac_f32_e32 v15, v25, v7
	v_fmac_f32_e32 v14, v26, v7
	v_fmac_f32_e32 v16, v25, v41
	v_fmac_f32_e32 v17, v26, v41
	s_waitcnt vmcnt(0)
	v_fmac_f32_e32 v15, v29, v41
	v_fmac_f32_e32 v14, v30, v41
	v_fma_f32 v19, -v29, v7, v16
	v_fma_f32 v16, -v30, v7, v17
	;; [unrolled: 1-line block ×3, first 2 shown]
	v_fmac_f32_e32 v14, v29, v40
	v_fma_f32 v15, v30, -v38, v19
	v_fmac_f32_e32 v16, v29, v38
	global_store_dwordx2 v[23:24], v[34:35], off
	global_store_dwordx2 v[8:9], v[2:3], off
	;; [unrolled: 1-line block ×5, first 2 shown]
	s_cbranch_scc1 .LBB8_10
.LBB8_4:                                ; =>This Inner Loop Header: Depth=1
	v_add_nc_u32_e32 v20, s18, v18
	s_waitcnt vmcnt(1)
	v_mul_f32_e32 v23, v3, v3
	s_mov_b32 s0, exec_lo
	v_ashrrev_i32_e32 v21, 31, v20
	v_fmac_f32_e32 v23, v2, v2
	v_lshlrev_b64 v[21:22], 3, v[20:21]
	v_add_co_u32 v7, vcc_lo, s2, v21
	v_add_co_ci_u32_e64 v8, null, s3, v22, vcc_lo
	global_load_dwordx2 v[14:15], v[7:8], off
	v_add_co_u32 v8, vcc_lo, s8, v21
	v_add_co_ci_u32_e64 v9, null, s9, v22, vcc_lo
	v_add_co_u32 v10, vcc_lo, s10, v21
	v_add_co_ci_u32_e64 v11, null, s11, v22, vcc_lo
	global_load_dwordx2 v[16:17], v[8:9], off
	global_load_dwordx2 v[12:13], v[10:11], off
	v_mul_f32_e64 v7, v2, -v3
	v_fmac_f32_e32 v7, v3, v2
	s_waitcnt vmcnt(2)
	v_mul_f32_e64 v19, v14, -v15
	v_mul_f32_e32 v25, v15, v15
	v_fmac_f32_e32 v19, v15, v14
	v_fmac_f32_e32 v25, v14, v14
	v_add_f32_e32 v24, v19, v7
	v_add_f32_e32 v19, v25, v23
                                        ; implicit-def: $vgpr7
	v_cmp_gt_f32_e32 vcc_lo, 0, v24
	v_cndmask_b32_e64 v23, v24, -v24, vcc_lo
	v_cmpx_ngt_f32_e32 v19, v23
	s_xor_b32 s5, exec_lo, s0
	s_cbranch_execz .LBB8_8
; %bb.5:                                ;   in Loop: Header=BB8_4 Depth=1
	v_mov_b32_e32 v7, 0
	s_mov_b32 s7, exec_lo
	v_cmpx_neq_f32_e32 0, v24
	s_cbranch_execz .LBB8_7
; %bb.6:                                ;   in Loop: Header=BB8_4 Depth=1
	v_div_scale_f32 v7, null, v23, v23, v19
	v_div_scale_f32 v26, vcc_lo, v19, v23, v19
	v_rcp_f32_e32 v24, v7
	v_fma_f32 v25, -v7, v24, 1.0
	v_fmac_f32_e32 v24, v25, v24
	v_mul_f32_e32 v25, v26, v24
	v_fma_f32 v27, -v7, v25, v26
	v_fmac_f32_e32 v25, v27, v24
	v_fma_f32 v7, -v7, v25, v26
	v_div_fmas_f32 v7, v7, v24, v25
	v_div_fixup_f32 v7, v7, v23, v19
	v_fma_f32 v7, v7, v7, 1.0
	v_mul_f32_e32 v19, 0x4f800000, v7
	v_cmp_gt_f32_e32 vcc_lo, 0xf800000, v7
	v_cndmask_b32_e32 v7, v7, v19, vcc_lo
	v_sqrt_f32_e32 v19, v7
	v_add_nc_u32_e32 v24, -1, v19
	v_add_nc_u32_e32 v25, 1, v19
	v_fma_f32 v26, -v24, v19, v7
	v_fma_f32 v27, -v25, v19, v7
	v_cmp_ge_f32_e64 s0, 0, v26
	v_cndmask_b32_e64 v19, v19, v24, s0
	v_cmp_lt_f32_e64 s0, 0, v27
	v_cndmask_b32_e64 v19, v19, v25, s0
	v_mul_f32_e32 v24, 0x37800000, v19
	v_cndmask_b32_e32 v19, v19, v24, vcc_lo
	v_cmp_class_f32_e64 vcc_lo, v7, 0x260
	v_cndmask_b32_e32 v7, v19, v7, vcc_lo
	v_mul_f32_e32 v7, v23, v7
.LBB8_7:                                ;   in Loop: Header=BB8_4 Depth=1
	s_or_b32 exec_lo, exec_lo, s7
                                        ; implicit-def: $vgpr19
                                        ; implicit-def: $vgpr23
.LBB8_8:                                ;   in Loop: Header=BB8_4 Depth=1
	s_andn2_saveexec_b32 s5, s5
	s_cbranch_execz .LBB8_3
; %bb.9:                                ;   in Loop: Header=BB8_4 Depth=1
	v_div_scale_f32 v7, null, v19, v19, v23
	v_div_scale_f32 v26, vcc_lo, v23, v19, v23
	v_rcp_f32_e32 v24, v7
	v_fma_f32 v25, -v7, v24, 1.0
	v_fmac_f32_e32 v24, v25, v24
	v_mul_f32_e32 v25, v26, v24
	v_fma_f32 v27, -v7, v25, v26
	v_fmac_f32_e32 v25, v27, v24
	v_fma_f32 v7, -v7, v25, v26
	v_div_fmas_f32 v7, v7, v24, v25
	v_div_fixup_f32 v7, v7, v19, v23
	v_fma_f32 v7, v7, v7, 1.0
	v_mul_f32_e32 v23, 0x4f800000, v7
	v_cmp_gt_f32_e32 vcc_lo, 0xf800000, v7
	v_cndmask_b32_e32 v7, v7, v23, vcc_lo
	v_sqrt_f32_e32 v23, v7
	v_add_nc_u32_e32 v24, -1, v23
	v_add_nc_u32_e32 v25, 1, v23
	v_fma_f32 v26, -v24, v23, v7
	v_fma_f32 v27, -v25, v23, v7
	v_cmp_ge_f32_e64 s0, 0, v26
	v_cndmask_b32_e64 v23, v23, v24, s0
	v_cmp_lt_f32_e64 s0, 0, v27
	v_cndmask_b32_e64 v23, v23, v25, s0
	v_mul_f32_e32 v24, 0x37800000, v23
	v_cndmask_b32_e32 v23, v23, v24, vcc_lo
	v_cmp_class_f32_e64 vcc_lo, v7, 0x260
	v_cndmask_b32_e32 v7, v23, v7, vcc_lo
	v_mul_f32_e32 v7, v19, v7
	s_branch .LBB8_3
.LBB8_10:
	s_mul_i32 s0, s18, s6
	v_add_nc_u32_e32 v2, s0, v1
	s_sub_i32 s2, s0, s18
	s_cmp_lt_i32 s16, 3
	v_add_nc_u32_e32 v8, s2, v1
	v_ashrrev_i32_e32 v3, 31, v2
	v_ashrrev_i32_e32 v9, 31, v8
	v_lshlrev_b64 v[2:3], 3, v[2:3]
	v_lshlrev_b64 v[8:9], 3, v[8:9]
	s_waitcnt lgkmcnt(0)
	v_add_co_u32 v4, vcc_lo, s8, v2
	v_add_co_ci_u32_e64 v5, null, s9, v3, vcc_lo
	v_add_co_u32 v2, vcc_lo, s14, v2
	v_add_co_ci_u32_e64 v3, null, s15, v3, vcc_lo
	global_load_dwordx2 v[4:5], v[4:5], off
	v_add_co_u32 v10, vcc_lo, s8, v8
	global_load_dwordx2 v[6:7], v[2:3], off
	v_add_co_ci_u32_e64 v11, null, s9, v9, vcc_lo
	global_load_dwordx2 v[10:11], v[10:11], off
	s_waitcnt vmcnt(2)
	v_mul_f32_e32 v14, v5, v5
	v_fmac_f32_e32 v14, v4, v4
	v_div_scale_f32 v12, null, v14, v14, 1.0
	v_div_scale_f32 v16, vcc_lo, 1.0, v14, 1.0
	v_rcp_f32_e32 v13, v12
	v_fma_f32 v15, -v12, v13, 1.0
	v_fmac_f32_e32 v13, v15, v13
	v_mul_f32_e32 v15, v16, v13
	v_fma_f32 v17, -v12, v15, v16
	v_fmac_f32_e32 v15, v17, v13
	s_waitcnt vmcnt(1)
	v_mul_f32_e64 v17, v5, -v6
	v_fma_f32 v12, -v12, v15, v16
	v_mul_f32_e32 v16, v5, v7
	v_fmac_f32_e32 v17, v7, v4
	v_div_fmas_f32 v5, v12, v13, v15
	v_add_co_u32 v12, vcc_lo, s10, v8
	v_add_co_ci_u32_e64 v13, null, s11, v9, vcc_lo
	v_fmac_f32_e32 v16, v6, v4
	v_div_fixup_f32 v14, v5, v14, 1.0
	v_add_co_u32 v8, vcc_lo, s14, v8
	global_load_dwordx2 v[4:5], v[12:13], off
	v_add_co_ci_u32_e64 v9, null, s15, v9, vcc_lo
	v_mul_f32_e32 v6, v14, v16
	v_mul_f32_e32 v7, v17, v14
	s_waitcnt vmcnt(1)
	v_mul_f32_e32 v12, v11, v11
	global_store_dwordx2 v[2:3], v[6:7], off
	global_load_dwordx2 v[2:3], v[8:9], off
	v_fmac_f32_e32 v12, v10, v10
	v_div_scale_f32 v13, null, v12, v12, 1.0
	v_div_scale_f32 v16, vcc_lo, 1.0, v12, 1.0
	v_rcp_f32_e32 v14, v13
	v_fma_f32 v15, -v13, v14, 1.0
	v_fmac_f32_e32 v14, v15, v14
	v_mul_f32_e32 v15, v16, v14
	v_fma_f32 v17, -v13, v15, v16
	v_fmac_f32_e32 v15, v17, v14
	s_waitcnt vmcnt(1)
	v_mul_f32_e32 v18, v7, v4
	v_mul_f32_e64 v7, v7, -v5
	v_fmac_f32_e32 v18, v5, v6
	v_fmac_f32_e32 v7, v4, v6
	v_fma_f32 v4, -v13, v15, v16
	s_waitcnt vmcnt(0)
	v_sub_f32_e32 v3, v3, v18
	v_sub_f32_e32 v2, v2, v7
	v_div_fmas_f32 v4, v4, v14, v15
	v_mul_f32_e32 v5, v11, v3
	v_mul_f32_e64 v6, v11, -v2
	v_div_fixup_f32 v4, v4, v12, 1.0
	v_fmac_f32_e32 v5, v2, v10
	v_fmac_f32_e32 v6, v3, v10
	v_mul_f32_e32 v2, v4, v5
	v_mul_f32_e32 v3, v6, v4
	global_store_dwordx2 v[8:9], v[2:3], off
	s_cbranch_scc1 .LBB8_13
; %bb.11:
	s_add_i32 s3, s16, -3
	s_add_i32 s2, s16, -2
	s_mul_i32 s4, s17, s3
	s_mul_i32 s3, s18, s3
	v_add3_u32 v2, s1, s4, v0
	s_mul_i32 s1, s18, s2
.LBB8_12:                               ; =>This Inner Loop Header: Depth=1
	v_add_nc_u32_e32 v4, s3, v1
	v_ashrrev_i32_e32 v3, 31, v2
	v_add_nc_u32_e32 v6, s1, v1
	v_add_nc_u32_e32 v8, s0, v1
	v_subrev_nc_u32_e32 v1, s18, v1
	v_ashrrev_i32_e32 v5, 31, v4
	v_lshlrev_b64 v[12:13], 3, v[2:3]
	v_ashrrev_i32_e32 v7, 31, v6
	v_ashrrev_i32_e32 v9, 31, v8
	v_subrev_nc_u32_e32 v2, s17, v2
	v_lshlrev_b64 v[4:5], 3, v[4:5]
	s_add_i32 s2, s2, -1
	v_lshlrev_b64 v[6:7], 3, v[6:7]
	v_lshlrev_b64 v[8:9], 3, v[8:9]
	s_cmp_lg_u32 s2, 0
	v_add_co_u32 v10, vcc_lo, s8, v4
	v_add_co_ci_u32_e64 v11, null, s9, v5, vcc_lo
	v_add_co_u32 v12, vcc_lo, s12, v12
	v_add_co_ci_u32_e64 v13, null, s13, v13, vcc_lo
	global_load_dwordx2 v[10:11], v[10:11], off
	v_add_co_u32 v14, vcc_lo, s14, v4
	v_add_co_ci_u32_e64 v15, null, s15, v5, vcc_lo
	v_add_co_u32 v3, vcc_lo, s10, v4
	v_add_co_ci_u32_e64 v4, null, s11, v5, vcc_lo
	;; [unrolled: 2-line block ×4, first 2 shown]
	global_load_dwordx2 v[12:13], v[12:13], off
	global_load_dwordx2 v[3:4], v[3:4], off
	s_clause 0x2
	global_load_dwordx2 v[5:6], v[5:6], off
	global_load_dwordx2 v[7:8], v[7:8], off
	;; [unrolled: 1-line block ×3, first 2 shown]
	s_waitcnt vmcnt(5)
	v_mul_f32_e32 v0, v11, v11
	v_fmac_f32_e32 v0, v10, v10
	v_div_scale_f32 v9, null, v0, v0, 1.0
	v_div_scale_f32 v22, vcc_lo, 1.0, v0, 1.0
	v_rcp_f32_e32 v18, v9
	s_waitcnt vmcnt(2)
	v_mul_f32_e64 v19, v6, -v4
	v_mul_f32_e32 v6, v6, v3
	s_waitcnt vmcnt(1)
	v_mul_f32_e64 v21, v8, -v13
	v_mul_f32_e32 v8, v8, v12
	v_fmac_f32_e32 v19, v3, v5
	v_fmac_f32_e32 v6, v4, v5
	;; [unrolled: 1-line block ×4, first 2 shown]
	v_fma_f32 v20, -v9, v18, 1.0
	s_waitcnt vmcnt(0)
	v_sub_f32_e32 v4, v17, v6
	v_sub_f32_e32 v6, v16, v19
	v_fmac_f32_e32 v18, v20, v18
	v_sub_f32_e32 v4, v4, v8
	v_mul_f32_e32 v3, v22, v18
	v_fma_f32 v5, -v9, v3, v22
	v_fmac_f32_e32 v3, v5, v18
	v_sub_f32_e32 v5, v6, v21
	v_mul_f32_e32 v6, v11, v4
	v_fma_f32 v7, -v9, v3, v22
	v_mul_f32_e64 v8, v11, -v5
	v_fmac_f32_e32 v6, v5, v10
	v_div_fmas_f32 v3, v7, v18, v3
	v_fmac_f32_e32 v8, v4, v10
	v_div_fixup_f32 v0, v3, v0, 1.0
	v_mul_f32_e32 v3, v0, v6
	v_mul_f32_e32 v4, v0, v8
	global_store_dwordx2 v[14:15], v[3:4], off
	s_cbranch_scc1 .LBB8_12
.LBB8_13:
	s_endpgm
	.section	.rodata,"a",@progbits
	.p2align	6, 0x0
	.amdhsa_kernel _ZN9rocsparseL32gtsv_interleaved_batch_qr_kernelILj128E21rocsparse_complex_numIfEEEviiiPKT0_PS3_S6_S6_S6_
		.amdhsa_group_segment_fixed_size 0
		.amdhsa_private_segment_fixed_size 0
		.amdhsa_kernarg_size 56
		.amdhsa_user_sgpr_count 6
		.amdhsa_user_sgpr_private_segment_buffer 1
		.amdhsa_user_sgpr_dispatch_ptr 0
		.amdhsa_user_sgpr_queue_ptr 0
		.amdhsa_user_sgpr_kernarg_segment_ptr 1
		.amdhsa_user_sgpr_dispatch_id 0
		.amdhsa_user_sgpr_flat_scratch_init 0
		.amdhsa_user_sgpr_private_segment_size 0
		.amdhsa_wavefront_size32 1
		.amdhsa_uses_dynamic_stack 0
		.amdhsa_system_sgpr_private_segment_wavefront_offset 0
		.amdhsa_system_sgpr_workgroup_id_x 1
		.amdhsa_system_sgpr_workgroup_id_y 0
		.amdhsa_system_sgpr_workgroup_id_z 0
		.amdhsa_system_sgpr_workgroup_info 0
		.amdhsa_system_vgpr_workitem_id 0
		.amdhsa_next_free_vgpr 44
		.amdhsa_next_free_sgpr 20
		.amdhsa_reserve_vcc 1
		.amdhsa_reserve_flat_scratch 0
		.amdhsa_float_round_mode_32 0
		.amdhsa_float_round_mode_16_64 0
		.amdhsa_float_denorm_mode_32 3
		.amdhsa_float_denorm_mode_16_64 3
		.amdhsa_dx10_clamp 1
		.amdhsa_ieee_mode 1
		.amdhsa_fp16_overflow 0
		.amdhsa_workgroup_processor_mode 1
		.amdhsa_memory_ordered 1
		.amdhsa_forward_progress 1
		.amdhsa_shared_vgpr_count 0
		.amdhsa_exception_fp_ieee_invalid_op 0
		.amdhsa_exception_fp_denorm_src 0
		.amdhsa_exception_fp_ieee_div_zero 0
		.amdhsa_exception_fp_ieee_overflow 0
		.amdhsa_exception_fp_ieee_underflow 0
		.amdhsa_exception_fp_ieee_inexact 0
		.amdhsa_exception_int_div_zero 0
	.end_amdhsa_kernel
	.section	.text._ZN9rocsparseL32gtsv_interleaved_batch_qr_kernelILj128E21rocsparse_complex_numIfEEEviiiPKT0_PS3_S6_S6_S6_,"axG",@progbits,_ZN9rocsparseL32gtsv_interleaved_batch_qr_kernelILj128E21rocsparse_complex_numIfEEEviiiPKT0_PS3_S6_S6_S6_,comdat
.Lfunc_end8:
	.size	_ZN9rocsparseL32gtsv_interleaved_batch_qr_kernelILj128E21rocsparse_complex_numIfEEEviiiPKT0_PS3_S6_S6_S6_, .Lfunc_end8-_ZN9rocsparseL32gtsv_interleaved_batch_qr_kernelILj128E21rocsparse_complex_numIfEEEviiiPKT0_PS3_S6_S6_S6_
                                        ; -- End function
	.set _ZN9rocsparseL32gtsv_interleaved_batch_qr_kernelILj128E21rocsparse_complex_numIfEEEviiiPKT0_PS3_S6_S6_S6_.num_vgpr, 44
	.set _ZN9rocsparseL32gtsv_interleaved_batch_qr_kernelILj128E21rocsparse_complex_numIfEEEviiiPKT0_PS3_S6_S6_S6_.num_agpr, 0
	.set _ZN9rocsparseL32gtsv_interleaved_batch_qr_kernelILj128E21rocsparse_complex_numIfEEEviiiPKT0_PS3_S6_S6_S6_.numbered_sgpr, 20
	.set _ZN9rocsparseL32gtsv_interleaved_batch_qr_kernelILj128E21rocsparse_complex_numIfEEEviiiPKT0_PS3_S6_S6_S6_.num_named_barrier, 0
	.set _ZN9rocsparseL32gtsv_interleaved_batch_qr_kernelILj128E21rocsparse_complex_numIfEEEviiiPKT0_PS3_S6_S6_S6_.private_seg_size, 0
	.set _ZN9rocsparseL32gtsv_interleaved_batch_qr_kernelILj128E21rocsparse_complex_numIfEEEviiiPKT0_PS3_S6_S6_S6_.uses_vcc, 1
	.set _ZN9rocsparseL32gtsv_interleaved_batch_qr_kernelILj128E21rocsparse_complex_numIfEEEviiiPKT0_PS3_S6_S6_S6_.uses_flat_scratch, 0
	.set _ZN9rocsparseL32gtsv_interleaved_batch_qr_kernelILj128E21rocsparse_complex_numIfEEEviiiPKT0_PS3_S6_S6_S6_.has_dyn_sized_stack, 0
	.set _ZN9rocsparseL32gtsv_interleaved_batch_qr_kernelILj128E21rocsparse_complex_numIfEEEviiiPKT0_PS3_S6_S6_S6_.has_recursion, 0
	.set _ZN9rocsparseL32gtsv_interleaved_batch_qr_kernelILj128E21rocsparse_complex_numIfEEEviiiPKT0_PS3_S6_S6_S6_.has_indirect_call, 0
	.section	.AMDGPU.csdata,"",@progbits
; Kernel info:
; codeLenInByte = 2364
; TotalNumSgprs: 22
; NumVgprs: 44
; ScratchSize: 0
; MemoryBound: 0
; FloatMode: 240
; IeeeMode: 1
; LDSByteSize: 0 bytes/workgroup (compile time only)
; SGPRBlocks: 0
; VGPRBlocks: 5
; NumSGPRsForWavesPerEU: 22
; NumVGPRsForWavesPerEU: 44
; Occupancy: 16
; WaveLimiterHint : 0
; COMPUTE_PGM_RSRC2:SCRATCH_EN: 0
; COMPUTE_PGM_RSRC2:USER_SGPR: 6
; COMPUTE_PGM_RSRC2:TRAP_HANDLER: 0
; COMPUTE_PGM_RSRC2:TGID_X_EN: 1
; COMPUTE_PGM_RSRC2:TGID_Y_EN: 0
; COMPUTE_PGM_RSRC2:TGID_Z_EN: 0
; COMPUTE_PGM_RSRC2:TIDIG_COMP_CNT: 0
	.section	.text._ZN9rocsparseL36gtsv_interleaved_batch_thomas_kernelILj128E21rocsparse_complex_numIdEEEviiiPKT0_S5_S5_PS3_S6_S6_,"axG",@progbits,_ZN9rocsparseL36gtsv_interleaved_batch_thomas_kernelILj128E21rocsparse_complex_numIdEEEviiiPKT0_S5_S5_PS3_S6_S6_,comdat
	.globl	_ZN9rocsparseL36gtsv_interleaved_batch_thomas_kernelILj128E21rocsparse_complex_numIdEEEviiiPKT0_S5_S5_PS3_S6_S6_ ; -- Begin function _ZN9rocsparseL36gtsv_interleaved_batch_thomas_kernelILj128E21rocsparse_complex_numIdEEEviiiPKT0_S5_S5_PS3_S6_S6_
	.p2align	8
	.type	_ZN9rocsparseL36gtsv_interleaved_batch_thomas_kernelILj128E21rocsparse_complex_numIdEEEviiiPKT0_S5_S5_PS3_S6_S6_,@function
_ZN9rocsparseL36gtsv_interleaved_batch_thomas_kernelILj128E21rocsparse_complex_numIdEEEviiiPKT0_S5_S5_PS3_S6_S6_: ; @_ZN9rocsparseL36gtsv_interleaved_batch_thomas_kernelILj128E21rocsparse_complex_numIdEEEviiiPKT0_S5_S5_PS3_S6_S6_
; %bb.0:
	s_load_dwordx4 s[0:3], s[4:5], 0x0
	s_lshl_b32 s18, s6, 7
	s_waitcnt lgkmcnt(0)
	s_mov_b32 s3, exec_lo
	v_or_b32_e32 v1, s18, v0
	v_cmpx_gt_i32_e64 s1, v1
	s_cbranch_execz .LBB9_8
; %bb.1:
	s_load_dwordx8 s[8:15], s[4:5], 0x18
	v_ashrrev_i32_e32 v2, 31, v1
	s_load_dwordx2 s[16:17], s[4:5], 0x38
	s_mov_b32 s3, -1
	s_cmp_lt_i32 s0, 2
	v_lshlrev_b64 v[7:8], 4, v[1:2]
	s_waitcnt lgkmcnt(0)
	v_add_co_u32 v1, vcc_lo, s8, v7
	v_add_co_ci_u32_e64 v2, null, s9, v8, vcc_lo
	v_add_co_u32 v9, vcc_lo, s10, v7
	v_add_co_ci_u32_e64 v10, null, s11, v8, vcc_lo
	global_load_dwordx4 v[3:6], v[1:2], off
	v_add_co_u32 v1, vcc_lo, s16, v7
	v_add_co_ci_u32_e64 v2, null, s17, v8, vcc_lo
	global_load_dwordx4 v[9:12], v[9:10], off
	global_load_dwordx4 v[13:16], v[1:2], off
	s_waitcnt vmcnt(2)
	v_mul_f64 v[17:18], v[5:6], v[5:6]
	v_fma_f64 v[17:18], v[3:4], v[3:4], v[17:18]
	v_div_scale_f64 v[19:20], null, v[17:18], v[17:18], 1.0
	v_div_scale_f64 v[25:26], vcc_lo, 1.0, v[17:18], 1.0
	v_rcp_f64_e32 v[21:22], v[19:20]
	v_fma_f64 v[23:24], -v[19:20], v[21:22], 1.0
	v_fma_f64 v[21:22], v[21:22], v[23:24], v[21:22]
	v_fma_f64 v[23:24], -v[19:20], v[21:22], 1.0
	v_fma_f64 v[21:22], v[21:22], v[23:24], v[21:22]
	v_mul_f64 v[23:24], v[25:26], v[21:22]
	v_fma_f64 v[19:20], -v[19:20], v[23:24], v[25:26]
	s_waitcnt vmcnt(1)
	v_mul_f64 v[25:26], v[5:6], v[11:12]
	v_div_fmas_f64 v[19:20], v[19:20], v[21:22], v[23:24]
	v_mul_f64 v[21:22], v[5:6], -v[9:10]
	s_waitcnt vmcnt(0)
	v_mul_f64 v[23:24], v[5:6], v[15:16]
	v_mul_f64 v[5:6], v[5:6], -v[13:14]
	v_fma_f64 v[9:10], v[9:10], v[3:4], v[25:26]
	v_div_fixup_f64 v[17:18], v[19:20], v[17:18], 1.0
	v_fma_f64 v[11:12], v[11:12], v[3:4], v[21:22]
	v_fma_f64 v[13:14], v[13:14], v[3:4], v[23:24]
	;; [unrolled: 1-line block ×3, first 2 shown]
	v_mul_f64 v[9:10], v[17:18], v[9:10]
	v_mul_f64 v[11:12], v[17:18], v[11:12]
	;; [unrolled: 1-line block ×4, first 2 shown]
	v_add_co_u32 v3, vcc_lo, s12, v7
	v_add_co_ci_u32_e64 v4, null, s13, v8, vcc_lo
	v_add_co_u32 v5, vcc_lo, s14, v7
	v_add_co_ci_u32_e64 v6, null, s15, v8, vcc_lo
	global_store_dwordx4 v[3:4], v[9:12], off
	global_store_dwordx4 v[5:6], v[13:16], off
	s_cbranch_scc0 .LBB9_3
; %bb.2:
	s_add_i32 s3, s0, -1
	s_mul_i32 s6, s1, s3
	s_ashr_i32 s7, s6, 31
	s_lshl_b64 s[6:7], s[6:7], 4
	v_add_co_u32 v9, vcc_lo, v5, s6
	v_add_co_ci_u32_e64 v10, null, s7, v6, vcc_lo
	s_mul_i32 s6, s2, s3
	s_mov_b32 s3, 0
	s_ashr_i32 s7, s6, 31
	global_load_dwordx4 v[9:12], v[9:10], off
	s_lshl_b64 s[6:7], s[6:7], 4
	v_add_co_u32 v13, vcc_lo, v1, s6
	v_add_co_ci_u32_e64 v14, null, s7, v2, vcc_lo
	s_waitcnt vmcnt(0)
	global_store_dwordx4 v[13:14], v[9:12], off
.LBB9_3:
	s_andn2_b32 vcc_lo, exec_lo, s3
	s_cbranch_vccnz .LBB9_8
; %bb.4:
	s_ashr_i32 s3, s2, 31
	s_load_dwordx2 s[4:5], s[4:5], 0x10
	s_lshl_b64 s[6:7], s[2:3], 4
	s_add_i32 s3, s0, -1
	s_or_b32 s19, s6, 8
	s_mov_b32 s22, s1
	s_add_u32 s20, s16, s19
	s_addc_u32 s21, s17, s7
	s_ashr_i32 s23, s1, 31
	v_add3_u32 v9, s18, s2, v0
	s_lshl_b64 s[16:17], s[22:23], 4
	s_mov_b32 s18, 0
	s_or_b32 s22, s16, 8
	s_add_u32 s12, s12, s22
	s_addc_u32 s13, s13, s17
	s_add_u32 s8, s8, s19
	s_addc_u32 s9, s9, s7
	;; [unrolled: 2-line block ×4, first 2 shown]
	s_mov_b32 s22, s3
.LBB9_5:                                ; =>This Inner Loop Header: Depth=1
	v_ashrrev_i32_e32 v10, 31, v9
	s_ashr_i32 s19, s18, 31
	s_add_i32 s22, s22, -1
	s_lshl_b64 s[24:25], s[18:19], 4
	s_add_i32 s18, s18, s1
	v_lshlrev_b64 v[10:11], 4, v[9:10]
	v_add_co_u32 v26, vcc_lo, v3, s24
	v_add_co_ci_u32_e64 v27, null, s25, v4, vcc_lo
	v_add_nc_u32_e32 v9, s2, v9
	s_waitcnt lgkmcnt(0)
	v_add_co_u32 v14, vcc_lo, s4, v10
	v_add_co_ci_u32_e64 v15, null, s5, v11, vcc_lo
	v_add_co_u32 v18, vcc_lo, s8, v7
	global_load_dwordx4 v[10:13], v[26:27], off
	global_load_dwordx4 v[14:17], v[14:15], off
	v_add_co_ci_u32_e64 v19, null, s9, v8, vcc_lo
	v_add_co_u32 v22, vcc_lo, s10, v7
	v_add_co_ci_u32_e64 v23, null, s11, v8, vcc_lo
	global_load_dwordx4 v[18:21], v[18:19], off offset:-8
	global_load_dwordx4 v[22:25], v[22:23], off offset:-8
	s_waitcnt vmcnt(2)
	v_mul_f64 v[28:29], v[16:17], v[10:11]
	v_mul_f64 v[30:31], v[16:17], -v[12:13]
	v_fma_f64 v[12:13], v[12:13], v[14:15], v[28:29]
	v_fma_f64 v[10:11], v[10:11], v[14:15], v[30:31]
	s_waitcnt vmcnt(1)
	v_add_f64 v[12:13], v[20:21], -v[12:13]
	v_add_f64 v[10:11], v[18:19], -v[10:11]
	v_mul_f64 v[28:29], v[12:13], v[12:13]
	v_fma_f64 v[28:29], v[10:11], v[10:11], v[28:29]
	v_div_scale_f64 v[30:31], null, v[28:29], v[28:29], 1.0
	v_div_scale_f64 v[36:37], vcc_lo, 1.0, v[28:29], 1.0
	v_rcp_f64_e32 v[32:33], v[30:31]
	v_fma_f64 v[34:35], -v[30:31], v[32:33], 1.0
	v_fma_f64 v[32:33], v[32:33], v[34:35], v[32:33]
	v_fma_f64 v[34:35], -v[30:31], v[32:33], 1.0
	v_fma_f64 v[32:33], v[32:33], v[34:35], v[32:33]
	v_mul_f64 v[34:35], v[36:37], v[32:33]
	v_fma_f64 v[30:31], -v[30:31], v[34:35], v[36:37]
	s_waitcnt vmcnt(0)
	v_mul_f64 v[36:37], v[24:25], v[12:13]
	v_mul_f64 v[12:13], v[12:13], -v[22:23]
	v_div_fmas_f64 v[30:31], v[30:31], v[32:33], v[34:35]
	v_fma_f64 v[22:23], v[22:23], v[10:11], v[36:37]
	v_fma_f64 v[12:13], v[24:25], v[10:11], v[12:13]
	v_div_fixup_f64 v[24:25], v[30:31], v[28:29], 1.0
	v_mul_f64 v[10:11], v[22:23], v[24:25]
	v_mul_f64 v[12:13], v[12:13], v[24:25]
	v_add_co_u32 v22, vcc_lo, s12, v7
	v_add_co_ci_u32_e64 v23, null, s13, v8, vcc_lo
	global_store_dwordx4 v[22:23], v[10:13], off offset:-8
	global_load_dwordx4 v[10:13], v[26:27], off
	v_add_co_u32 v22, vcc_lo, v5, s24
	v_add_co_ci_u32_e64 v23, null, s25, v6, vcc_lo
	v_add_co_u32 v26, vcc_lo, s20, v7
	v_add_co_ci_u32_e64 v27, null, s21, v8, vcc_lo
	global_load_dwordx4 v[22:25], v[22:23], off
	s_add_u32 s20, s20, s6
	s_addc_u32 s21, s21, s7
	global_load_dwordx4 v[26:29], v[26:27], off offset:-8
	s_add_u32 s12, s12, s16
	s_addc_u32 s13, s13, s17
	s_add_u32 s8, s8, s6
	s_addc_u32 s9, s9, s7
	s_waitcnt vmcnt(2)
	v_mul_f64 v[30:31], v[16:17], v[10:11]
	v_mul_f64 v[32:33], v[16:17], -v[12:13]
	s_waitcnt vmcnt(1)
	v_mul_f64 v[34:35], v[16:17], v[22:23]
	v_mul_f64 v[16:17], v[16:17], -v[24:25]
	v_fma_f64 v[12:13], v[12:13], v[14:15], v[30:31]
	v_fma_f64 v[10:11], v[10:11], v[14:15], v[32:33]
	;; [unrolled: 1-line block ×4, first 2 shown]
	v_add_f64 v[12:13], v[20:21], -v[12:13]
	v_add_f64 v[10:11], v[18:19], -v[10:11]
	s_waitcnt vmcnt(0)
	v_add_f64 v[22:23], v[28:29], -v[24:25]
	v_add_f64 v[14:15], v[26:27], -v[14:15]
	v_mul_f64 v[18:19], v[12:13], v[12:13]
	v_mul_f64 v[24:25], v[22:23], v[12:13]
	v_mul_f64 v[12:13], v[12:13], -v[14:15]
	v_fma_f64 v[18:19], v[10:11], v[10:11], v[18:19]
	v_fma_f64 v[14:15], v[14:15], v[10:11], v[24:25]
	;; [unrolled: 1-line block ×3, first 2 shown]
	v_div_scale_f64 v[20:21], null, v[18:19], v[18:19], 1.0
	v_div_scale_f64 v[36:37], vcc_lo, 1.0, v[18:19], 1.0
	v_rcp_f64_e32 v[30:31], v[20:21]
	v_fma_f64 v[32:33], -v[20:21], v[30:31], 1.0
	v_fma_f64 v[30:31], v[30:31], v[32:33], v[30:31]
	v_fma_f64 v[32:33], -v[20:21], v[30:31], 1.0
	v_fma_f64 v[30:31], v[30:31], v[32:33], v[30:31]
	v_mul_f64 v[16:17], v[36:37], v[30:31]
	v_fma_f64 v[20:21], -v[20:21], v[16:17], v[36:37]
	v_div_fmas_f64 v[16:17], v[20:21], v[30:31], v[16:17]
	v_div_fixup_f64 v[16:17], v[16:17], v[18:19], 1.0
	v_mul_f64 v[10:11], v[14:15], v[16:17]
	v_mul_f64 v[12:13], v[12:13], v[16:17]
	v_add_co_u32 v14, vcc_lo, s14, v7
	s_add_u32 s14, s14, s16
	v_add_co_ci_u32_e64 v15, null, s15, v8, vcc_lo
	s_addc_u32 s15, s15, s17
	s_add_u32 s10, s10, s6
	s_addc_u32 s11, s11, s7
	s_cmp_eq_u32 s22, 0
	global_store_dwordx4 v[14:15], v[10:13], off offset:-8
	s_cbranch_scc0 .LBB9_5
; %bb.6:
	s_mul_i32 s4, s1, s3
	s_ashr_i32 s5, s4, 31
	s_lshl_b64 s[4:5], s[4:5], 4
	v_add_co_u32 v7, vcc_lo, v5, s4
	v_add_co_ci_u32_e64 v8, null, s5, v6, vcc_lo
	s_mul_i32 s4, s2, s3
	s_ashr_i32 s5, s4, 31
	global_load_dwordx4 v[7:10], v[7:8], off
	s_lshl_b64 s[6:7], s[4:5], 4
	s_add_i32 s5, s0, -2
	v_add_co_u32 v11, vcc_lo, v1, s6
	v_add_co_ci_u32_e64 v12, null, s7, v2, vcc_lo
	s_mul_i32 s0, s2, s5
	s_mul_i32 s6, s1, s5
	s_mov_b32 s5, 0
	s_waitcnt vmcnt(0)
	global_store_dwordx4 v[11:12], v[7:10], off
.LBB9_7:                                ; =>This Inner Loop Header: Depth=1
	s_ashr_i32 s7, s6, 31
	s_add_i32 s8, s4, s5
	s_lshl_b64 s[10:11], s[6:7], 4
	s_ashr_i32 s9, s8, 31
	v_add_co_u32 v7, vcc_lo, v3, s10
	s_lshl_b64 s[8:9], s[8:9], 4
	v_add_co_ci_u32_e64 v8, null, s11, v4, vcc_lo
	v_add_co_u32 v11, vcc_lo, v1, s8
	v_add_co_ci_u32_e64 v12, null, s9, v2, vcc_lo
	global_load_dwordx4 v[7:10], v[7:8], off
	global_load_dwordx4 v[11:14], v[11:12], off
	v_add_co_u32 v15, vcc_lo, v5, s10
	v_add_co_ci_u32_e64 v16, null, s11, v6, vcc_lo
	s_add_i32 s8, s0, s5
	s_add_i32 s3, s3, -1
	s_ashr_i32 s9, s8, 31
	global_load_dwordx4 v[15:18], v[15:16], off
	s_lshl_b64 s[8:9], s[8:9], 4
	s_sub_i32 s5, s5, s2
	s_sub_i32 s6, s6, s1
	s_cmp_eq_u32 s3, 0
	s_waitcnt vmcnt(1)
	v_mul_f64 v[19:20], v[13:14], -v[9:10]
	v_mul_f64 v[13:14], v[13:14], v[7:8]
	v_fma_f64 v[7:8], v[7:8], v[11:12], v[19:20]
	v_fma_f64 v[9:10], v[9:10], v[11:12], v[13:14]
	v_add_co_u32 v11, vcc_lo, v1, s8
	v_add_co_ci_u32_e64 v12, null, s9, v2, vcc_lo
	s_waitcnt vmcnt(0)
	v_add_f64 v[7:8], v[15:16], -v[7:8]
	v_add_f64 v[9:10], v[17:18], -v[9:10]
	global_store_dwordx4 v[11:12], v[7:10], off
	s_cbranch_scc0 .LBB9_7
.LBB9_8:
	s_endpgm
	.section	.rodata,"a",@progbits
	.p2align	6, 0x0
	.amdhsa_kernel _ZN9rocsparseL36gtsv_interleaved_batch_thomas_kernelILj128E21rocsparse_complex_numIdEEEviiiPKT0_S5_S5_PS3_S6_S6_
		.amdhsa_group_segment_fixed_size 0
		.amdhsa_private_segment_fixed_size 0
		.amdhsa_kernarg_size 64
		.amdhsa_user_sgpr_count 6
		.amdhsa_user_sgpr_private_segment_buffer 1
		.amdhsa_user_sgpr_dispatch_ptr 0
		.amdhsa_user_sgpr_queue_ptr 0
		.amdhsa_user_sgpr_kernarg_segment_ptr 1
		.amdhsa_user_sgpr_dispatch_id 0
		.amdhsa_user_sgpr_flat_scratch_init 0
		.amdhsa_user_sgpr_private_segment_size 0
		.amdhsa_wavefront_size32 1
		.amdhsa_uses_dynamic_stack 0
		.amdhsa_system_sgpr_private_segment_wavefront_offset 0
		.amdhsa_system_sgpr_workgroup_id_x 1
		.amdhsa_system_sgpr_workgroup_id_y 0
		.amdhsa_system_sgpr_workgroup_id_z 0
		.amdhsa_system_sgpr_workgroup_info 0
		.amdhsa_system_vgpr_workitem_id 0
		.amdhsa_next_free_vgpr 38
		.amdhsa_next_free_sgpr 26
		.amdhsa_reserve_vcc 1
		.amdhsa_reserve_flat_scratch 0
		.amdhsa_float_round_mode_32 0
		.amdhsa_float_round_mode_16_64 0
		.amdhsa_float_denorm_mode_32 3
		.amdhsa_float_denorm_mode_16_64 3
		.amdhsa_dx10_clamp 1
		.amdhsa_ieee_mode 1
		.amdhsa_fp16_overflow 0
		.amdhsa_workgroup_processor_mode 1
		.amdhsa_memory_ordered 1
		.amdhsa_forward_progress 1
		.amdhsa_shared_vgpr_count 0
		.amdhsa_exception_fp_ieee_invalid_op 0
		.amdhsa_exception_fp_denorm_src 0
		.amdhsa_exception_fp_ieee_div_zero 0
		.amdhsa_exception_fp_ieee_overflow 0
		.amdhsa_exception_fp_ieee_underflow 0
		.amdhsa_exception_fp_ieee_inexact 0
		.amdhsa_exception_int_div_zero 0
	.end_amdhsa_kernel
	.section	.text._ZN9rocsparseL36gtsv_interleaved_batch_thomas_kernelILj128E21rocsparse_complex_numIdEEEviiiPKT0_S5_S5_PS3_S6_S6_,"axG",@progbits,_ZN9rocsparseL36gtsv_interleaved_batch_thomas_kernelILj128E21rocsparse_complex_numIdEEEviiiPKT0_S5_S5_PS3_S6_S6_,comdat
.Lfunc_end9:
	.size	_ZN9rocsparseL36gtsv_interleaved_batch_thomas_kernelILj128E21rocsparse_complex_numIdEEEviiiPKT0_S5_S5_PS3_S6_S6_, .Lfunc_end9-_ZN9rocsparseL36gtsv_interleaved_batch_thomas_kernelILj128E21rocsparse_complex_numIdEEEviiiPKT0_S5_S5_PS3_S6_S6_
                                        ; -- End function
	.set _ZN9rocsparseL36gtsv_interleaved_batch_thomas_kernelILj128E21rocsparse_complex_numIdEEEviiiPKT0_S5_S5_PS3_S6_S6_.num_vgpr, 38
	.set _ZN9rocsparseL36gtsv_interleaved_batch_thomas_kernelILj128E21rocsparse_complex_numIdEEEviiiPKT0_S5_S5_PS3_S6_S6_.num_agpr, 0
	.set _ZN9rocsparseL36gtsv_interleaved_batch_thomas_kernelILj128E21rocsparse_complex_numIdEEEviiiPKT0_S5_S5_PS3_S6_S6_.numbered_sgpr, 26
	.set _ZN9rocsparseL36gtsv_interleaved_batch_thomas_kernelILj128E21rocsparse_complex_numIdEEEviiiPKT0_S5_S5_PS3_S6_S6_.num_named_barrier, 0
	.set _ZN9rocsparseL36gtsv_interleaved_batch_thomas_kernelILj128E21rocsparse_complex_numIdEEEviiiPKT0_S5_S5_PS3_S6_S6_.private_seg_size, 0
	.set _ZN9rocsparseL36gtsv_interleaved_batch_thomas_kernelILj128E21rocsparse_complex_numIdEEEviiiPKT0_S5_S5_PS3_S6_S6_.uses_vcc, 1
	.set _ZN9rocsparseL36gtsv_interleaved_batch_thomas_kernelILj128E21rocsparse_complex_numIdEEEviiiPKT0_S5_S5_PS3_S6_S6_.uses_flat_scratch, 0
	.set _ZN9rocsparseL36gtsv_interleaved_batch_thomas_kernelILj128E21rocsparse_complex_numIdEEEviiiPKT0_S5_S5_PS3_S6_S6_.has_dyn_sized_stack, 0
	.set _ZN9rocsparseL36gtsv_interleaved_batch_thomas_kernelILj128E21rocsparse_complex_numIdEEEviiiPKT0_S5_S5_PS3_S6_S6_.has_recursion, 0
	.set _ZN9rocsparseL36gtsv_interleaved_batch_thomas_kernelILj128E21rocsparse_complex_numIdEEEviiiPKT0_S5_S5_PS3_S6_S6_.has_indirect_call, 0
	.section	.AMDGPU.csdata,"",@progbits
; Kernel info:
; codeLenInByte = 1644
; TotalNumSgprs: 28
; NumVgprs: 38
; ScratchSize: 0
; MemoryBound: 0
; FloatMode: 240
; IeeeMode: 1
; LDSByteSize: 0 bytes/workgroup (compile time only)
; SGPRBlocks: 0
; VGPRBlocks: 4
; NumSGPRsForWavesPerEU: 28
; NumVGPRsForWavesPerEU: 38
; Occupancy: 16
; WaveLimiterHint : 0
; COMPUTE_PGM_RSRC2:SCRATCH_EN: 0
; COMPUTE_PGM_RSRC2:USER_SGPR: 6
; COMPUTE_PGM_RSRC2:TRAP_HANDLER: 0
; COMPUTE_PGM_RSRC2:TGID_X_EN: 1
; COMPUTE_PGM_RSRC2:TGID_Y_EN: 0
; COMPUTE_PGM_RSRC2:TGID_Z_EN: 0
; COMPUTE_PGM_RSRC2:TIDIG_COMP_CNT: 0
	.section	.text._ZN9rocsparseL32gtsv_interleaved_batch_lu_kernelILj128E21rocsparse_complex_numIdEEEviiiPT0_S4_S4_S4_PiS4_,"axG",@progbits,_ZN9rocsparseL32gtsv_interleaved_batch_lu_kernelILj128E21rocsparse_complex_numIdEEEviiiPT0_S4_S4_S4_PiS4_,comdat
	.globl	_ZN9rocsparseL32gtsv_interleaved_batch_lu_kernelILj128E21rocsparse_complex_numIdEEEviiiPT0_S4_S4_S4_PiS4_ ; -- Begin function _ZN9rocsparseL32gtsv_interleaved_batch_lu_kernelILj128E21rocsparse_complex_numIdEEEviiiPT0_S4_S4_S4_PiS4_
	.p2align	8
	.type	_ZN9rocsparseL32gtsv_interleaved_batch_lu_kernelILj128E21rocsparse_complex_numIdEEEviiiPT0_S4_S4_S4_PiS4_,@function
_ZN9rocsparseL32gtsv_interleaved_batch_lu_kernelILj128E21rocsparse_complex_numIdEEEviiiPT0_S4_S4_S4_PiS4_: ; @_ZN9rocsparseL32gtsv_interleaved_batch_lu_kernelILj128E21rocsparse_complex_numIdEEEviiiPT0_S4_S4_S4_PiS4_
; %bb.0:
	s_load_dwordx4 s[16:19], s[6:7], 0x0
	s_add_u32 s0, s0, s9
	s_addc_u32 s1, s1, 0
	s_waitcnt lgkmcnt(0)
	s_lshl_b32 s19, s8, 7
	s_mov_b32 s8, exec_lo
	v_or_b32_e32 v9, s19, v0
	v_cmpx_gt_i32_e64 s17, v9
	s_cbranch_execz .LBB10_31
; %bb.1:
	s_clause 0x1
	s_load_dwordx8 s[8:15], s[6:7], 0x18
	s_load_dwordx2 s[20:21], s[6:7], 0x38
	v_ashrrev_i32_e32 v10, 31, v9
	s_add_i32 s22, s16, -1
	s_cmp_lt_i32 s16, 2
	v_lshlrev_b64 v[3:4], 2, v[9:10]
	s_waitcnt lgkmcnt(0)
	v_add_co_u32 v10, vcc_lo, s14, v3
	v_add_co_ci_u32_e64 v11, null, s15, v4, vcc_lo
	v_mov_b32_e32 v3, 0
	global_store_dword v[10:11], v3, off
	s_cbranch_scc1 .LBB10_28
; %bb.2:
	s_load_dwordx2 s[24:25], s[4:5], 0x4
	s_load_dwordx2 s[4:5], s[6:7], 0x10
	s_mov_b32 s6, 0
	s_waitcnt lgkmcnt(0)
	v_mul_u32_u24_e32 v1, s25, v1
	s_lshr_b32 s23, s24, 16
	s_mul_i32 s23, s23, s25
	v_mad_u32_u24 v1, s23, v0, v1
	v_add_lshl_u32 v28, v1, v2, 4
	v_add_nc_u32_e32 v29, 0x1800, v28
	v_add_nc_u32_e32 v30, 0x1000, v28
	v_add_nc_u32_e32 v31, 0x800, v28
	s_branch .LBB10_4
.LBB10_3:                               ;   in Loop: Header=BB10_4 Depth=1
	s_or_b32 exec_lo, exec_lo, s24
	s_cmp_lg_u32 s23, s22
	s_mov_b32 s6, s23
	s_cbranch_scc0 .LBB10_20
.LBB10_4:                               ; =>This Inner Loop Header: Depth=1
	v_mad_u64_u32 v[1:2], null, s6, s18, v[9:10]
	s_mov_b32 s7, exec_lo
	v_ashrrev_i32_e32 v2, 31, v1
	v_lshlrev_b64 v[16:17], 4, v[1:2]
	v_add_nc_u32_e32 v1, s18, v1
	v_ashrrev_i32_e32 v2, 31, v1
	v_add_co_u32 v18, vcc_lo, s8, v16
	v_add_co_ci_u32_e64 v19, null, s9, v17, vcc_lo
	v_lshlrev_b64 v[14:15], 4, v[1:2]
	global_load_dwordx4 v[5:8], v[18:19], off
	v_add_co_u32 v12, vcc_lo, s4, v14
	v_add_co_ci_u32_e64 v13, null, s5, v15, vcc_lo
	global_load_dwordx4 v[1:4], v[12:13], off
	s_waitcnt vmcnt(1)
	v_cmp_gt_f64_e32 vcc_lo, 0, v[5:6]
	v_xor_b32_e32 v20, 0x80000000, v6
	v_xor_b32_e32 v21, 0x80000000, v8
	v_mov_b32_e32 v22, v5
	v_mov_b32_e32 v24, v7
	v_cndmask_b32_e32 v23, v6, v20, vcc_lo
	v_cmp_gt_f64_e32 vcc_lo, 0, v[7:8]
	v_cndmask_b32_e32 v25, v8, v21, vcc_lo
                                        ; implicit-def: $vgpr20_vgpr21
	v_cmpx_ngt_f64_e32 v[22:23], v[24:25]
	s_xor_b32 s7, exec_lo, s7
	s_cbranch_execz .LBB10_8
; %bb.5:                                ;   in Loop: Header=BB10_4 Depth=1
	v_mov_b32_e32 v20, 0
	v_mov_b32_e32 v21, 0
	s_mov_b32 s23, exec_lo
	v_cmpx_neq_f64_e32 0, v[7:8]
	s_cbranch_execz .LBB10_7
; %bb.6:                                ;   in Loop: Header=BB10_4 Depth=1
	v_div_scale_f64 v[20:21], null, v[24:25], v[24:25], v[22:23]
	v_div_scale_f64 v[34:35], vcc_lo, v[22:23], v[24:25], v[22:23]
	v_rcp_f64_e32 v[26:27], v[20:21]
	v_fma_f64 v[32:33], -v[20:21], v[26:27], 1.0
	v_fma_f64 v[26:27], v[26:27], v[32:33], v[26:27]
	v_fma_f64 v[32:33], -v[20:21], v[26:27], 1.0
	v_fma_f64 v[26:27], v[26:27], v[32:33], v[26:27]
	v_mul_f64 v[32:33], v[34:35], v[26:27]
	v_fma_f64 v[20:21], -v[20:21], v[32:33], v[34:35]
	v_div_fmas_f64 v[20:21], v[20:21], v[26:27], v[32:33]
	v_div_fixup_f64 v[20:21], v[20:21], v[24:25], v[22:23]
	v_fma_f64 v[20:21], v[20:21], v[20:21], 1.0
	v_cmp_gt_f64_e32 vcc_lo, 0x10000000, v[20:21]
	v_cndmask_b32_e64 v22, 0, 0x100, vcc_lo
	v_ldexp_f64 v[20:21], v[20:21], v22
	v_rsq_f64_e32 v[22:23], v[20:21]
	v_mul_f64 v[26:27], v[20:21], v[22:23]
	v_mul_f64 v[22:23], v[22:23], 0.5
	v_fma_f64 v[32:33], -v[22:23], v[26:27], 0.5
	v_fma_f64 v[26:27], v[26:27], v[32:33], v[26:27]
	v_fma_f64 v[22:23], v[22:23], v[32:33], v[22:23]
	v_fma_f64 v[32:33], -v[26:27], v[26:27], v[20:21]
	v_fma_f64 v[26:27], v[32:33], v[22:23], v[26:27]
	v_fma_f64 v[32:33], -v[26:27], v[26:27], v[20:21]
	v_fma_f64 v[22:23], v[32:33], v[22:23], v[26:27]
	v_cndmask_b32_e64 v26, 0, 0xffffff80, vcc_lo
	v_cmp_class_f64_e64 vcc_lo, v[20:21], 0x260
	v_ldexp_f64 v[22:23], v[22:23], v26
	v_cndmask_b32_e32 v21, v23, v21, vcc_lo
	v_cndmask_b32_e32 v20, v22, v20, vcc_lo
	v_mul_f64 v[20:21], v[24:25], v[20:21]
.LBB10_7:                               ;   in Loop: Header=BB10_4 Depth=1
	s_or_b32 exec_lo, exec_lo, s23
                                        ; implicit-def: $vgpr22_vgpr23
                                        ; implicit-def: $vgpr24_vgpr25
.LBB10_8:                               ;   in Loop: Header=BB10_4 Depth=1
	s_andn2_saveexec_b32 s7, s7
	s_cbranch_execz .LBB10_10
; %bb.9:                                ;   in Loop: Header=BB10_4 Depth=1
	v_div_scale_f64 v[20:21], null, v[22:23], v[22:23], v[24:25]
	v_div_scale_f64 v[34:35], vcc_lo, v[24:25], v[22:23], v[24:25]
	v_rcp_f64_e32 v[26:27], v[20:21]
	v_fma_f64 v[32:33], -v[20:21], v[26:27], 1.0
	v_fma_f64 v[26:27], v[26:27], v[32:33], v[26:27]
	v_fma_f64 v[32:33], -v[20:21], v[26:27], 1.0
	v_fma_f64 v[26:27], v[26:27], v[32:33], v[26:27]
	v_mul_f64 v[32:33], v[34:35], v[26:27]
	v_fma_f64 v[20:21], -v[20:21], v[32:33], v[34:35]
	v_div_fmas_f64 v[20:21], v[20:21], v[26:27], v[32:33]
	v_div_fixup_f64 v[20:21], v[20:21], v[22:23], v[24:25]
	v_fma_f64 v[20:21], v[20:21], v[20:21], 1.0
	v_cmp_gt_f64_e32 vcc_lo, 0x10000000, v[20:21]
	v_cndmask_b32_e64 v24, 0, 0x100, vcc_lo
	v_ldexp_f64 v[20:21], v[20:21], v24
	v_rsq_f64_e32 v[24:25], v[20:21]
	v_mul_f64 v[26:27], v[20:21], v[24:25]
	v_mul_f64 v[24:25], v[24:25], 0.5
	v_fma_f64 v[32:33], -v[24:25], v[26:27], 0.5
	v_fma_f64 v[26:27], v[26:27], v[32:33], v[26:27]
	v_fma_f64 v[24:25], v[24:25], v[32:33], v[24:25]
	v_fma_f64 v[32:33], -v[26:27], v[26:27], v[20:21]
	v_fma_f64 v[26:27], v[32:33], v[24:25], v[26:27]
	v_fma_f64 v[32:33], -v[26:27], v[26:27], v[20:21]
	v_fma_f64 v[24:25], v[32:33], v[24:25], v[26:27]
	v_cndmask_b32_e64 v26, 0, 0xffffff80, vcc_lo
	v_cmp_class_f64_e64 vcc_lo, v[20:21], 0x260
	v_ldexp_f64 v[24:25], v[24:25], v26
	v_cndmask_b32_e32 v21, v25, v21, vcc_lo
	v_cndmask_b32_e32 v20, v24, v20, vcc_lo
	v_mul_f64 v[20:21], v[22:23], v[20:21]
.LBB10_10:                              ;   in Loop: Header=BB10_4 Depth=1
	s_or_b32 exec_lo, exec_lo, s7
	s_waitcnt vmcnt(0)
	v_cmp_gt_f64_e32 vcc_lo, 0, v[1:2]
	v_xor_b32_e32 v23, 0x80000000, v2
	v_xor_b32_e32 v24, 0x80000000, v4
	v_mov_b32_e32 v22, v1
	s_mov_b32 s7, exec_lo
                                        ; implicit-def: $vgpr26_vgpr27
	v_cndmask_b32_e32 v23, v2, v23, vcc_lo
	v_cmp_gt_f64_e32 vcc_lo, 0, v[3:4]
	v_cndmask_b32_e32 v25, v4, v24, vcc_lo
	v_mov_b32_e32 v24, v3
	v_cmpx_ngt_f64_e32 v[22:23], v[24:25]
	s_xor_b32 s7, exec_lo, s7
	s_cbranch_execz .LBB10_14
; %bb.11:                               ;   in Loop: Header=BB10_4 Depth=1
	v_mov_b32_e32 v26, 0
	v_mov_b32_e32 v27, 0
	s_mov_b32 s23, exec_lo
	v_cmpx_neq_f64_e32 0, v[3:4]
	s_cbranch_execz .LBB10_13
; %bb.12:                               ;   in Loop: Header=BB10_4 Depth=1
	v_div_scale_f64 v[26:27], null, v[24:25], v[24:25], v[22:23]
	v_div_scale_f64 v[36:37], vcc_lo, v[22:23], v[24:25], v[22:23]
	v_rcp_f64_e32 v[32:33], v[26:27]
	v_fma_f64 v[34:35], -v[26:27], v[32:33], 1.0
	v_fma_f64 v[32:33], v[32:33], v[34:35], v[32:33]
	v_fma_f64 v[34:35], -v[26:27], v[32:33], 1.0
	v_fma_f64 v[32:33], v[32:33], v[34:35], v[32:33]
	v_mul_f64 v[34:35], v[36:37], v[32:33]
	v_fma_f64 v[26:27], -v[26:27], v[34:35], v[36:37]
	v_div_fmas_f64 v[26:27], v[26:27], v[32:33], v[34:35]
	v_div_fixup_f64 v[22:23], v[26:27], v[24:25], v[22:23]
	v_fma_f64 v[22:23], v[22:23], v[22:23], 1.0
	v_cmp_gt_f64_e32 vcc_lo, 0x10000000, v[22:23]
	v_cndmask_b32_e64 v26, 0, 0x100, vcc_lo
	v_ldexp_f64 v[22:23], v[22:23], v26
	v_rsq_f64_e32 v[26:27], v[22:23]
	v_mul_f64 v[32:33], v[22:23], v[26:27]
	v_mul_f64 v[26:27], v[26:27], 0.5
	v_fma_f64 v[34:35], -v[26:27], v[32:33], 0.5
	v_fma_f64 v[32:33], v[32:33], v[34:35], v[32:33]
	v_fma_f64 v[26:27], v[26:27], v[34:35], v[26:27]
	v_fma_f64 v[34:35], -v[32:33], v[32:33], v[22:23]
	v_fma_f64 v[32:33], v[34:35], v[26:27], v[32:33]
	v_fma_f64 v[34:35], -v[32:33], v[32:33], v[22:23]
	v_fma_f64 v[26:27], v[34:35], v[26:27], v[32:33]
	v_cndmask_b32_e64 v32, 0, 0xffffff80, vcc_lo
	v_cmp_class_f64_e64 vcc_lo, v[22:23], 0x260
	v_ldexp_f64 v[26:27], v[26:27], v32
	v_cndmask_b32_e32 v23, v27, v23, vcc_lo
	v_cndmask_b32_e32 v22, v26, v22, vcc_lo
	v_mul_f64 v[26:27], v[24:25], v[22:23]
.LBB10_13:                              ;   in Loop: Header=BB10_4 Depth=1
	s_or_b32 exec_lo, exec_lo, s23
                                        ; implicit-def: $vgpr22_vgpr23
                                        ; implicit-def: $vgpr24_vgpr25
.LBB10_14:                              ;   in Loop: Header=BB10_4 Depth=1
	s_andn2_saveexec_b32 s7, s7
	s_cbranch_execz .LBB10_16
; %bb.15:                               ;   in Loop: Header=BB10_4 Depth=1
	v_div_scale_f64 v[26:27], null, v[22:23], v[22:23], v[24:25]
	v_div_scale_f64 v[36:37], vcc_lo, v[24:25], v[22:23], v[24:25]
	v_rcp_f64_e32 v[32:33], v[26:27]
	v_fma_f64 v[34:35], -v[26:27], v[32:33], 1.0
	v_fma_f64 v[32:33], v[32:33], v[34:35], v[32:33]
	v_fma_f64 v[34:35], -v[26:27], v[32:33], 1.0
	v_fma_f64 v[32:33], v[32:33], v[34:35], v[32:33]
	v_mul_f64 v[34:35], v[36:37], v[32:33]
	v_fma_f64 v[26:27], -v[26:27], v[34:35], v[36:37]
	v_div_fmas_f64 v[26:27], v[26:27], v[32:33], v[34:35]
	v_div_fixup_f64 v[24:25], v[26:27], v[22:23], v[24:25]
	v_fma_f64 v[24:25], v[24:25], v[24:25], 1.0
	v_cmp_gt_f64_e32 vcc_lo, 0x10000000, v[24:25]
	v_cndmask_b32_e64 v26, 0, 0x100, vcc_lo
	v_ldexp_f64 v[24:25], v[24:25], v26
	v_rsq_f64_e32 v[26:27], v[24:25]
	v_mul_f64 v[32:33], v[24:25], v[26:27]
	v_mul_f64 v[26:27], v[26:27], 0.5
	v_fma_f64 v[34:35], -v[26:27], v[32:33], 0.5
	v_fma_f64 v[32:33], v[32:33], v[34:35], v[32:33]
	v_fma_f64 v[26:27], v[26:27], v[34:35], v[26:27]
	v_fma_f64 v[34:35], -v[32:33], v[32:33], v[24:25]
	v_fma_f64 v[32:33], v[34:35], v[26:27], v[32:33]
	v_fma_f64 v[34:35], -v[32:33], v[32:33], v[24:25]
	v_fma_f64 v[26:27], v[34:35], v[26:27], v[32:33]
	v_cndmask_b32_e64 v32, 0, 0xffffff80, vcc_lo
	v_cmp_class_f64_e64 vcc_lo, v[24:25], 0x260
	v_ldexp_f64 v[26:27], v[26:27], v32
	v_cndmask_b32_e32 v25, v27, v25, vcc_lo
	v_cndmask_b32_e32 v24, v26, v24, vcc_lo
	v_mul_f64 v[26:27], v[22:23], v[24:25]
.LBB10_16:                              ;   in Loop: Header=BB10_4 Depth=1
	s_or_b32 exec_lo, exec_lo, s7
	v_cmp_nlt_f64_e32 vcc_lo, v[20:21], v[26:27]
	v_mul_f64 v[20:21], v[3:4], v[7:8]
	s_add_i32 s23, s6, 1
	s_and_saveexec_b32 s7, vcc_lo
	s_xor_b32 s7, exec_lo, s7
	s_cbranch_execnz .LBB10_18
; %bb.17:                               ;   in Loop: Header=BB10_4 Depth=1
	s_andn2_saveexec_b32 s24, s7
	s_cbranch_execz .LBB10_3
	s_branch .LBB10_19
.LBB10_18:                              ;   in Loop: Header=BB10_4 Depth=1
	v_mad_u64_u32 v[18:19], null, s6, s17, v[9:10]
	v_add_co_u32 v16, vcc_lo, s10, v16
	v_add_co_ci_u32_e64 v17, null, s11, v17, vcc_lo
	v_mul_f64 v[26:27], v[7:8], v[7:8]
	v_mul_f64 v[7:8], v[7:8], -v[1:2]
	v_ashrrev_i32_e32 v19, 31, v18
	v_fma_f64 v[1:2], v[1:2], v[5:6], v[20:21]
	s_mul_i32 s24, s23, s17
	v_mov_b32_e32 v20, s23
	s_ashr_i32 s25, s24, 31
	v_lshlrev_b64 v[18:19], 4, v[18:19]
	s_lshl_b64 s[24:25], s[24:25], 2
	v_add_co_u32 v22, vcc_lo, s12, v18
	v_add_co_ci_u32_e64 v23, null, s13, v19, vcc_lo
	v_add_co_u32 v40, vcc_lo, s8, v14
	global_load_dwordx4 v[16:19], v[16:17], off
	global_load_dwordx4 v[22:25], v[22:23], off
	v_add_co_ci_u32_e64 v41, null, s9, v15, vcc_lo
	v_add_co_u32 v42, vcc_lo, s10, v14
	v_add_co_ci_u32_e64 v43, null, s11, v15, vcc_lo
	global_load_dwordx4 v[32:35], v[40:41], off
	global_load_dwordx4 v[36:39], v[42:43], off
	v_fma_f64 v[14:15], v[5:6], v[5:6], v[26:27]
	v_fma_f64 v[3:4], v[3:4], v[5:6], v[7:8]
	v_div_scale_f64 v[26:27], null, v[14:15], v[14:15], 1.0
	v_div_scale_f64 v[48:49], vcc_lo, 1.0, v[14:15], 1.0
	v_rcp_f64_e32 v[44:45], v[26:27]
	v_fma_f64 v[46:47], -v[26:27], v[44:45], 1.0
	v_fma_f64 v[44:45], v[44:45], v[46:47], v[44:45]
	v_fma_f64 v[46:47], -v[26:27], v[44:45], 1.0
	v_fma_f64 v[44:45], v[44:45], v[46:47], v[44:45]
	v_mul_f64 v[46:47], v[48:49], v[44:45]
	v_fma_f64 v[26:27], -v[26:27], v[46:47], v[48:49]
	v_div_fmas_f64 v[26:27], v[26:27], v[44:45], v[46:47]
	v_div_fixup_f64 v[7:8], v[26:27], v[14:15], 1.0
	v_mul_f64 v[3:4], v[3:4], v[7:8]
	v_mul_f64 v[1:2], v[1:2], v[7:8]
	s_waitcnt vmcnt(3)
	v_mul_f64 v[5:6], v[18:19], -v[3:4]
	v_mul_f64 v[7:8], v[1:2], v[18:19]
	s_waitcnt vmcnt(2)
	v_mul_f64 v[14:15], v[24:25], -v[3:4]
	v_mul_f64 v[18:19], v[1:2], v[24:25]
	v_fma_f64 v[5:6], v[1:2], v[16:17], v[5:6]
	v_fma_f64 v[7:8], v[3:4], v[16:17], v[7:8]
	;; [unrolled: 1-line block ×4, first 2 shown]
	v_add_co_u32 v18, vcc_lo, v10, s24
	v_add_co_ci_u32_e64 v19, null, s25, v11, vcc_lo
	s_waitcnt vmcnt(1)
	v_add_f64 v[5:6], v[32:33], -v[5:6]
	v_add_f64 v[7:8], v[34:35], -v[7:8]
	s_waitcnt vmcnt(0)
	v_add_f64 v[14:15], v[36:37], -v[14:15]
	v_add_f64 v[16:17], v[38:39], -v[16:17]
	global_store_dword v[18:19], v20, off
	global_store_dwordx4 v[12:13], v[1:4], off
	global_store_dwordx4 v[40:41], v[5:8], off
	;; [unrolled: 1-line block ×3, first 2 shown]
                                        ; implicit-def: $vgpr12_vgpr13
                                        ; implicit-def: $vgpr18_vgpr19
                                        ; implicit-def: $vgpr14_vgpr15
                                        ; implicit-def: $vgpr16_vgpr17
                                        ; implicit-def: $vgpr3_vgpr4
                                        ; implicit-def: $vgpr7_vgpr8
                                        ; implicit-def: $vgpr20_vgpr21
	s_andn2_saveexec_b32 s24, s7
	s_cbranch_execz .LBB10_3
.LBB10_19:                              ;   in Loop: Header=BB10_4 Depth=1
	v_add_co_u32 v26, vcc_lo, s10, v14
	v_add_co_ci_u32_e64 v27, null, s11, v15, vcc_lo
	s_mul_i32 s6, s6, s17
	v_mul_f64 v[48:49], v[3:4], v[3:4]
	v_add_nc_u32_e32 v52, s6, v9
	global_load_dwordx4 v[22:25], v[26:27], off
	v_fma_f64 v[59:60], v[5:6], v[1:2], v[20:21]
	s_ashr_i32 s7, s6, 31
	v_ashrrev_i32_e32 v53, 31, v52
	s_lshl_b64 s[6:7], s[6:7], 2
	v_lshlrev_b64 v[32:33], 4, v[52:53]
	v_add_co_u32 v53, vcc_lo, s8, v14
	v_add_co_ci_u32_e64 v54, null, s9, v15, vcc_lo
	v_add_co_u32 v44, vcc_lo, s12, v32
	v_add_co_ci_u32_e64 v45, null, s13, v33, vcc_lo
	global_load_dwordx4 v[32:35], v[53:54], off
	global_load_dwordx4 v[36:39], v[44:45], off
	v_add_co_u32 v46, vcc_lo, s10, v16
	v_add_co_ci_u32_e64 v47, null, s11, v17, vcc_lo
	v_fma_f64 v[48:49], v[1:2], v[1:2], v[48:49]
	global_store_dwordx4 v[18:19], v[1:4], off
	global_load_dwordx4 v[40:43], v[46:47], off
	v_div_scale_f64 v[50:51], null, v[48:49], v[48:49], 1.0
	v_div_scale_f64 v[20:21], vcc_lo, 1.0, v[48:49], 1.0
	v_rcp_f64_e32 v[55:56], v[50:51]
	v_fma_f64 v[57:58], -v[50:51], v[55:56], 1.0
	v_fma_f64 v[55:56], v[55:56], v[57:58], v[55:56]
	v_mul_f64 v[57:58], v[3:4], -v[5:6]
	v_fma_f64 v[5:6], -v[50:51], v[55:56], 1.0
	v_fma_f64 v[57:58], v[7:8], v[1:2], v[57:58]
	v_fma_f64 v[55:56], v[55:56], v[5:6], v[55:56]
	v_mul_f64 v[18:19], v[20:21], v[55:56]
	v_fma_f64 v[20:21], -v[50:51], v[18:19], v[20:21]
	v_div_fmas_f64 v[50:51], v[20:21], v[55:56], v[18:19]
	v_div_fixup_f64 v[48:49], v[50:51], v[48:49], 1.0
	v_mul_f64 v[50:51], v[48:49], v[57:58]
	v_mul_f64 v[48:49], v[48:49], v[59:60]
	v_add_co_u32 v59, vcc_lo, s20, v16
	v_add_co_ci_u32_e64 v60, null, s21, v17, vcc_lo
	v_add_co_u32 v61, vcc_lo, s20, v14
	v_add_co_ci_u32_e64 v62, null, s21, v15, vcc_lo
	;; [unrolled: 2-line block ×3, first 2 shown]
	s_waitcnt vmcnt(3)
	global_store_dwordx4 v[44:45], v[22:25], off
	global_load_dwordx4 v[5:8], v[44:45], off
	s_waitcnt vmcnt(3)
	global_store_dwordx4 v[46:47], v[32:35], off
	s_waitcnt vmcnt(2)
	global_store_dwordx4 v[26:27], v[36:39], off
	s_clause 0x1
	global_load_dwordx4 v[1:4], v[46:47], off
	global_load_dwordx4 v[18:21], v[26:27], off
	s_waitcnt vmcnt(3)
	global_store_dwordx4 v[53:54], v[40:43], off
	global_load_dwordx4 v[44:47], v[53:54], off
	s_waitcnt vmcnt(3)
	v_mul_f64 v[55:56], v[7:8], -v[50:51]
	v_mul_f64 v[7:8], v[48:49], v[7:8]
	v_fma_f64 v[55:56], v[48:49], v[5:6], v[55:56]
	v_fma_f64 v[5:6], v[50:51], v[5:6], v[7:8]
	s_waitcnt vmcnt(2)
	v_mul_f64 v[7:8], v[3:4], -v[50:51]
	v_mul_f64 v[3:4], v[48:49], v[3:4]
	v_fma_f64 v[7:8], v[48:49], v[1:2], v[7:8]
	v_fma_f64 v[57:58], v[50:51], v[1:2], v[3:4]
	s_waitcnt vmcnt(1)
	v_add_f64 v[1:2], v[18:19], -v[55:56]
	v_add_f64 v[3:4], v[20:21], -v[5:6]
	s_waitcnt vmcnt(0)
	v_add_f64 v[5:6], v[44:45], -v[7:8]
	v_add_f64 v[7:8], v[46:47], -v[57:58]
	s_clause 0x1
	global_load_dwordx4 v[14:17], v[61:62], off
	global_load_dwordx4 v[18:21], v[59:60], off
	global_load_dword v46, v[63:64], off
	v_add_nc_u32_e32 v44, s17, v52
	v_mov_b32_e32 v47, s23
	global_store_dwordx4 v[12:13], v[48:51], off
	v_ashrrev_i32_e32 v45, 31, v44
	global_store_dword v[63:64], v47, off
	ds_write2_b64 v29, v[32:33], v[34:35] offset1:1
	ds_write2_b64 v30, v[40:41], v[42:43] offset1:1
	ds_write2_b64 v31, v[22:23], v[24:25] offset1:1
	v_lshlrev_b64 v[44:45], 2, v[44:45]
	v_add_co_u32 v44, vcc_lo, s14, v44
	v_add_co_ci_u32_e64 v45, null, s15, v45, vcc_lo
	s_waitcnt vmcnt(2)
	global_store_dwordx4 v[59:60], v[14:17], off
	s_waitcnt vmcnt(1)
	global_store_dwordx4 v[61:62], v[18:21], off
	s_waitcnt vmcnt(0)
	global_store_dword v[44:45], v46, off
	ds_write2_b64 v28, v[36:37], v[38:39] offset1:1
	global_store_dwordx4 v[53:54], v[5:8], off
	global_store_dwordx4 v[26:27], v[1:4], off
	s_branch .LBB10_3
.LBB10_20:
	v_mov_b32_e32 v5, 0
	s_mov_b32 s6, 1
	s_branch .LBB10_23
.LBB10_21:                              ;   in Loop: Header=BB10_23 Depth=1
	s_or_b32 exec_lo, exec_lo, s14
	v_mad_u64_u32 v[5:6], null, s6, s18, v[9:10]
	v_ashrrev_i32_e32 v6, 31, v5
	v_lshlrev_b64 v[5:6], 4, v[5:6]
	v_add_co_u32 v16, vcc_lo, s20, v5
	v_add_co_ci_u32_e64 v17, null, s21, v6, vcc_lo
	global_load_dwordx4 v[5:8], v[16:17], off
	s_waitcnt vmcnt(0)
	v_add_f64 v[12:13], v[3:4], v[5:6]
	v_add_f64 v[14:15], v[1:2], v[7:8]
	v_mov_b32_e32 v5, s6
	global_store_dwordx4 v[16:17], v[12:15], off
.LBB10_22:                              ;   in Loop: Header=BB10_23 Depth=1
	s_or_b32 exec_lo, exec_lo, s7
	s_add_i32 s6, s6, 1
	s_cmp_eq_u32 s6, s16
	s_cbranch_scc1 .LBB10_28
.LBB10_23:                              ; =>This Loop Header: Depth=1
                                        ;     Child Loop BB10_26 Depth 2
	s_mul_i32 s14, s6, s17
	s_mov_b32 s7, exec_lo
	s_ashr_i32 s15, s14, 31
	s_lshl_b64 s[14:15], s[14:15], 2
	v_add_co_u32 v1, vcc_lo, v10, s14
	v_add_co_ci_u32_e64 v2, null, s15, v11, vcc_lo
	global_load_dword v1, v[1:2], off
	s_waitcnt vmcnt(0)
	v_cmpx_ge_i32_e64 s6, v1
	s_cbranch_execz .LBB10_22
; %bb.24:                               ;   in Loop: Header=BB10_23 Depth=1
	v_mov_b32_e32 v1, 0
	v_mov_b32_e32 v3, 0
	v_mov_b32_e32 v2, 0
	v_mov_b32_e32 v4, 0
	s_mov_b32 s14, exec_lo
	v_cmpx_gt_u32_e64 s6, v5
	s_cbranch_execz .LBB10_21
; %bb.25:                               ;   in Loop: Header=BB10_23 Depth=1
	v_mul_lo_u32 v6, s18, v5
	v_mov_b32_e32 v1, 0
	v_mov_b32_e32 v3, 0
	;; [unrolled: 1-line block ×5, first 2 shown]
	s_mov_b32 s15, 0
	v_add_nc_u32_e32 v7, s18, v6
	s_inst_prefetch 0x1
	.p2align	6
.LBB10_26:                              ;   Parent Loop BB10_23 Depth=1
                                        ; =>  This Inner Loop Header: Depth=2
	v_add_nc_u32_e32 v12, v6, v8
	v_add_nc_u32_e32 v14, v7, v8
	;; [unrolled: 1-line block ×4, first 2 shown]
	v_ashrrev_i32_e32 v13, 31, v12
	v_ashrrev_i32_e32 v15, 31, v14
	v_lshlrev_b64 v[12:13], 4, v[12:13]
	v_lshlrev_b64 v[14:15], 4, v[14:15]
	v_add_co_u32 v12, vcc_lo, s20, v12
	v_add_co_ci_u32_e64 v13, null, s21, v13, vcc_lo
	v_add_co_u32 v16, vcc_lo, s4, v14
	v_add_co_ci_u32_e64 v17, null, s5, v15, vcc_lo
	global_load_dwordx4 v[12:15], v[12:13], off
	global_load_dwordx4 v[16:19], v[16:17], off
	v_cmp_le_u32_e32 vcc_lo, s6, v5
	s_or_b32 s15, vcc_lo, s15
	s_waitcnt vmcnt(0)
	v_mul_f64 v[20:21], v[14:15], -v[18:19]
	v_mul_f64 v[14:15], v[14:15], v[16:17]
	v_fma_f64 v[16:17], v[16:17], v[12:13], v[20:21]
	v_fma_f64 v[12:13], v[18:19], v[12:13], v[14:15]
	v_add_f64 v[3:4], v[3:4], -v[16:17]
	v_add_f64 v[1:2], v[1:2], -v[12:13]
	s_andn2_b32 exec_lo, exec_lo, s15
	s_cbranch_execnz .LBB10_26
; %bb.27:                               ;   in Loop: Header=BB10_23 Depth=1
	s_inst_prefetch 0x2
	s_or_b32 exec_lo, exec_lo, s15
	s_branch .LBB10_21
.LBB10_28:
	s_mul_i32 s4, s18, s22
	v_add_nc_u32_e32 v1, s4, v9
	s_sub_i32 s5, s4, s18
	s_cmp_lt_i32 s16, 3
	v_ashrrev_i32_e32 v2, 31, v1
	v_lshlrev_b64 v[5:6], 4, v[1:2]
	v_add_co_u32 v1, vcc_lo, s8, v5
	v_add_co_ci_u32_e64 v2, null, s9, v6, vcc_lo
	v_add_co_u32 v14, vcc_lo, s20, v5
	v_add_co_ci_u32_e64 v15, null, s21, v6, vcc_lo
	global_load_dwordx4 v[1:4], v[1:2], off
	global_load_dwordx4 v[5:8], v[14:15], off
	s_waitcnt vmcnt(1)
	v_mul_f64 v[10:11], v[3:4], v[3:4]
	v_fma_f64 v[16:17], v[1:2], v[1:2], v[10:11]
	v_add_nc_u32_e32 v10, s5, v9
	v_ashrrev_i32_e32 v11, 31, v10
	v_lshlrev_b64 v[22:23], 4, v[10:11]
	v_add_co_u32 v10, vcc_lo, s8, v22
	v_add_co_ci_u32_e64 v11, null, s9, v23, vcc_lo
	v_div_scale_f64 v[18:19], null, v[16:17], v[16:17], 1.0
	global_load_dwordx4 v[10:13], v[10:11], off
	v_div_scale_f64 v[26:27], vcc_lo, 1.0, v[16:17], 1.0
	v_rcp_f64_e32 v[20:21], v[18:19]
	v_fma_f64 v[24:25], -v[18:19], v[20:21], 1.0
	v_fma_f64 v[20:21], v[20:21], v[24:25], v[20:21]
	v_fma_f64 v[24:25], -v[18:19], v[20:21], 1.0
	v_fma_f64 v[20:21], v[20:21], v[24:25], v[20:21]
	v_mul_f64 v[24:25], v[26:27], v[20:21]
	v_fma_f64 v[18:19], -v[18:19], v[24:25], v[26:27]
	s_waitcnt vmcnt(1)
	v_mul_f64 v[26:27], v[3:4], v[7:8]
	v_mul_f64 v[3:4], v[3:4], -v[5:6]
	v_div_fmas_f64 v[18:19], v[18:19], v[20:21], v[24:25]
	v_add_co_u32 v20, vcc_lo, s10, v22
	v_add_co_ci_u32_e64 v21, null, s11, v23, vcc_lo
	v_fma_f64 v[5:6], v[5:6], v[1:2], v[26:27]
	v_fma_f64 v[7:8], v[7:8], v[1:2], v[3:4]
	global_load_dwordx4 v[1:4], v[20:21], off
	v_div_fixup_f64 v[16:17], v[18:19], v[16:17], 1.0
	v_add_co_u32 v18, vcc_lo, s20, v22
	v_add_co_ci_u32_e64 v19, null, s21, v23, vcc_lo
	v_mul_f64 v[5:6], v[16:17], v[5:6]
	v_mul_f64 v[7:8], v[16:17], v[7:8]
	global_store_dwordx4 v[14:15], v[5:8], off
	global_load_dwordx4 v[14:17], v[18:19], off
	s_waitcnt vmcnt(2)
	v_mul_f64 v[20:21], v[12:13], v[12:13]
	v_fma_f64 v[20:21], v[10:11], v[10:11], v[20:21]
	v_div_scale_f64 v[22:23], null, v[20:21], v[20:21], 1.0
	v_div_scale_f64 v[28:29], vcc_lo, 1.0, v[20:21], 1.0
	v_rcp_f64_e32 v[24:25], v[22:23]
	v_fma_f64 v[26:27], -v[22:23], v[24:25], 1.0
	v_fma_f64 v[24:25], v[24:25], v[26:27], v[24:25]
	v_fma_f64 v[26:27], -v[22:23], v[24:25], 1.0
	v_fma_f64 v[24:25], v[24:25], v[26:27], v[24:25]
	v_mul_f64 v[30:31], v[28:29], v[24:25]
	s_waitcnt vmcnt(1)
	v_mul_f64 v[26:27], v[7:8], v[1:2]
	v_mul_f64 v[7:8], v[7:8], -v[3:4]
	v_fma_f64 v[3:4], v[3:4], v[5:6], v[26:27]
	v_fma_f64 v[1:2], v[1:2], v[5:6], v[7:8]
	v_fma_f64 v[5:6], -v[22:23], v[30:31], v[28:29]
	v_div_fmas_f64 v[5:6], v[5:6], v[24:25], v[30:31]
	s_waitcnt vmcnt(0)
	v_add_f64 v[3:4], v[16:17], -v[3:4]
	v_add_f64 v[1:2], v[14:15], -v[1:2]
	v_div_fixup_f64 v[5:6], v[5:6], v[20:21], 1.0
	v_mul_f64 v[7:8], v[3:4], v[12:13]
	v_mul_f64 v[12:13], v[12:13], -v[1:2]
	v_fma_f64 v[1:2], v[1:2], v[10:11], v[7:8]
	v_fma_f64 v[3:4], v[3:4], v[10:11], v[12:13]
	v_mul_f64 v[1:2], v[1:2], v[5:6]
	v_mul_f64 v[3:4], v[3:4], v[5:6]
	global_store_dwordx4 v[18:19], v[1:4], off
	s_cbranch_scc1 .LBB10_31
; %bb.29:
	s_add_i32 s7, s16, -3
	s_add_i32 s5, s16, -2
	s_mul_i32 s6, s17, s7
	s_mul_i32 s7, s18, s7
	v_add3_u32 v0, s19, s6, v0
	s_mul_i32 s6, s18, s5
.LBB10_30:                              ; =>This Inner Loop Header: Depth=1
	v_add_nc_u32_e32 v1, s7, v9
	v_add_nc_u32_e32 v10, s6, v9
	;; [unrolled: 1-line block ×3, first 2 shown]
	v_subrev_nc_u32_e32 v9, s18, v9
	s_add_i32 s5, s5, -1
	v_ashrrev_i32_e32 v2, 31, v1
	v_ashrrev_i32_e32 v11, 31, v10
	;; [unrolled: 1-line block ×3, first 2 shown]
	s_cmp_lg_u32 s5, 0
	v_lshlrev_b64 v[6:7], 4, v[1:2]
	v_lshlrev_b64 v[10:11], 4, v[10:11]
	v_lshlrev_b64 v[18:19], 4, v[18:19]
	v_add_co_u32 v1, vcc_lo, s8, v6
	v_add_co_ci_u32_e64 v2, null, s9, v7, vcc_lo
	v_add_co_u32 v10, vcc_lo, s20, v10
	v_add_co_ci_u32_e64 v11, null, s21, v11, vcc_lo
	global_load_dwordx4 v[2:5], v[1:2], off
	v_add_co_u32 v14, vcc_lo, s10, v6
	v_add_co_ci_u32_e64 v15, null, s11, v7, vcc_lo
	global_load_dwordx4 v[10:13], v[10:11], off
	global_load_dwordx4 v[14:17], v[14:15], off
	v_ashrrev_i32_e32 v1, 31, v0
	v_lshlrev_b64 v[20:21], 4, v[0:1]
	v_subrev_nc_u32_e32 v0, s17, v0
	v_add_co_u32 v20, vcc_lo, s12, v20
	v_add_co_ci_u32_e64 v21, null, s13, v21, vcc_lo
	v_add_co_u32 v22, vcc_lo, s20, v18
	v_add_co_ci_u32_e64 v23, null, s21, v19, vcc_lo
	global_load_dwordx4 v[18:21], v[20:21], off
	global_load_dwordx4 v[22:25], v[22:23], off
	v_add_co_u32 v6, vcc_lo, s20, v6
	v_add_co_ci_u32_e64 v7, null, s21, v7, vcc_lo
	global_load_dwordx4 v[26:29], v[6:7], off
	s_waitcnt vmcnt(5)
	v_mul_f64 v[30:31], v[4:5], v[4:5]
	v_fma_f64 v[30:31], v[2:3], v[2:3], v[30:31]
	s_waitcnt vmcnt(1)
	v_mul_f64 v[40:41], v[24:25], -v[20:21]
	v_mul_f64 v[24:25], v[24:25], v[18:19]
	v_div_scale_f64 v[32:33], null, v[30:31], v[30:31], 1.0
	v_fma_f64 v[18:19], v[18:19], v[22:23], v[40:41]
	v_fma_f64 v[20:21], v[20:21], v[22:23], v[24:25]
	v_rcp_f64_e32 v[34:35], v[32:33]
	v_fma_f64 v[36:37], -v[32:33], v[34:35], 1.0
	v_fma_f64 v[34:35], v[34:35], v[36:37], v[34:35]
	v_mul_f64 v[36:37], v[12:13], v[14:15]
	v_mul_f64 v[12:13], v[12:13], -v[16:17]
	v_fma_f64 v[38:39], -v[32:33], v[34:35], 1.0
	v_fma_f64 v[16:17], v[16:17], v[10:11], v[36:37]
	v_fma_f64 v[10:11], v[14:15], v[10:11], v[12:13]
	v_div_scale_f64 v[12:13], vcc_lo, 1.0, v[30:31], 1.0
	v_fma_f64 v[14:15], v[34:35], v[38:39], v[34:35]
	s_waitcnt vmcnt(0)
	v_add_f64 v[16:17], v[28:29], -v[16:17]
	v_add_f64 v[10:11], v[26:27], -v[10:11]
	v_mul_f64 v[22:23], v[12:13], v[14:15]
	v_add_f64 v[16:17], v[16:17], -v[20:21]
	v_add_f64 v[10:11], v[10:11], -v[18:19]
	v_fma_f64 v[12:13], -v[32:33], v[22:23], v[12:13]
	v_mul_f64 v[18:19], v[4:5], v[16:17]
	v_mul_f64 v[4:5], v[4:5], -v[10:11]
	v_div_fmas_f64 v[12:13], v[12:13], v[14:15], v[22:23]
	v_fma_f64 v[10:11], v[10:11], v[2:3], v[18:19]
	v_fma_f64 v[3:4], v[16:17], v[2:3], v[4:5]
	v_div_fixup_f64 v[12:13], v[12:13], v[30:31], 1.0
	v_mul_f64 v[1:2], v[10:11], v[12:13]
	v_mul_f64 v[3:4], v[12:13], v[3:4]
	global_store_dwordx4 v[6:7], v[1:4], off
	s_cbranch_scc1 .LBB10_30
.LBB10_31:
	s_endpgm
	.section	.rodata,"a",@progbits
	.p2align	6, 0x0
	.amdhsa_kernel _ZN9rocsparseL32gtsv_interleaved_batch_lu_kernelILj128E21rocsparse_complex_numIdEEEviiiPT0_S4_S4_S4_PiS4_
		.amdhsa_group_segment_fixed_size 8192
		.amdhsa_private_segment_fixed_size 24
		.amdhsa_kernarg_size 64
		.amdhsa_user_sgpr_count 8
		.amdhsa_user_sgpr_private_segment_buffer 1
		.amdhsa_user_sgpr_dispatch_ptr 1
		.amdhsa_user_sgpr_queue_ptr 0
		.amdhsa_user_sgpr_kernarg_segment_ptr 1
		.amdhsa_user_sgpr_dispatch_id 0
		.amdhsa_user_sgpr_flat_scratch_init 0
		.amdhsa_user_sgpr_private_segment_size 0
		.amdhsa_wavefront_size32 1
		.amdhsa_uses_dynamic_stack 0
		.amdhsa_system_sgpr_private_segment_wavefront_offset 1
		.amdhsa_system_sgpr_workgroup_id_x 1
		.amdhsa_system_sgpr_workgroup_id_y 0
		.amdhsa_system_sgpr_workgroup_id_z 0
		.amdhsa_system_sgpr_workgroup_info 0
		.amdhsa_system_vgpr_workitem_id 2
		.amdhsa_next_free_vgpr 65
		.amdhsa_next_free_sgpr 26
		.amdhsa_reserve_vcc 1
		.amdhsa_reserve_flat_scratch 0
		.amdhsa_float_round_mode_32 0
		.amdhsa_float_round_mode_16_64 0
		.amdhsa_float_denorm_mode_32 3
		.amdhsa_float_denorm_mode_16_64 3
		.amdhsa_dx10_clamp 1
		.amdhsa_ieee_mode 1
		.amdhsa_fp16_overflow 0
		.amdhsa_workgroup_processor_mode 1
		.amdhsa_memory_ordered 1
		.amdhsa_forward_progress 1
		.amdhsa_shared_vgpr_count 0
		.amdhsa_exception_fp_ieee_invalid_op 0
		.amdhsa_exception_fp_denorm_src 0
		.amdhsa_exception_fp_ieee_div_zero 0
		.amdhsa_exception_fp_ieee_overflow 0
		.amdhsa_exception_fp_ieee_underflow 0
		.amdhsa_exception_fp_ieee_inexact 0
		.amdhsa_exception_int_div_zero 0
	.end_amdhsa_kernel
	.section	.text._ZN9rocsparseL32gtsv_interleaved_batch_lu_kernelILj128E21rocsparse_complex_numIdEEEviiiPT0_S4_S4_S4_PiS4_,"axG",@progbits,_ZN9rocsparseL32gtsv_interleaved_batch_lu_kernelILj128E21rocsparse_complex_numIdEEEviiiPT0_S4_S4_S4_PiS4_,comdat
.Lfunc_end10:
	.size	_ZN9rocsparseL32gtsv_interleaved_batch_lu_kernelILj128E21rocsparse_complex_numIdEEEviiiPT0_S4_S4_S4_PiS4_, .Lfunc_end10-_ZN9rocsparseL32gtsv_interleaved_batch_lu_kernelILj128E21rocsparse_complex_numIdEEEviiiPT0_S4_S4_S4_PiS4_
                                        ; -- End function
	.set _ZN9rocsparseL32gtsv_interleaved_batch_lu_kernelILj128E21rocsparse_complex_numIdEEEviiiPT0_S4_S4_S4_PiS4_.num_vgpr, 65
	.set _ZN9rocsparseL32gtsv_interleaved_batch_lu_kernelILj128E21rocsparse_complex_numIdEEEviiiPT0_S4_S4_S4_PiS4_.num_agpr, 0
	.set _ZN9rocsparseL32gtsv_interleaved_batch_lu_kernelILj128E21rocsparse_complex_numIdEEEviiiPT0_S4_S4_S4_PiS4_.numbered_sgpr, 26
	.set _ZN9rocsparseL32gtsv_interleaved_batch_lu_kernelILj128E21rocsparse_complex_numIdEEEviiiPT0_S4_S4_S4_PiS4_.num_named_barrier, 0
	.set _ZN9rocsparseL32gtsv_interleaved_batch_lu_kernelILj128E21rocsparse_complex_numIdEEEviiiPT0_S4_S4_S4_PiS4_.private_seg_size, 24
	.set _ZN9rocsparseL32gtsv_interleaved_batch_lu_kernelILj128E21rocsparse_complex_numIdEEEviiiPT0_S4_S4_S4_PiS4_.uses_vcc, 1
	.set _ZN9rocsparseL32gtsv_interleaved_batch_lu_kernelILj128E21rocsparse_complex_numIdEEEviiiPT0_S4_S4_S4_PiS4_.uses_flat_scratch, 0
	.set _ZN9rocsparseL32gtsv_interleaved_batch_lu_kernelILj128E21rocsparse_complex_numIdEEEviiiPT0_S4_S4_S4_PiS4_.has_dyn_sized_stack, 0
	.set _ZN9rocsparseL32gtsv_interleaved_batch_lu_kernelILj128E21rocsparse_complex_numIdEEEviiiPT0_S4_S4_S4_PiS4_.has_recursion, 0
	.set _ZN9rocsparseL32gtsv_interleaved_batch_lu_kernelILj128E21rocsparse_complex_numIdEEEviiiPT0_S4_S4_S4_PiS4_.has_indirect_call, 0
	.section	.AMDGPU.csdata,"",@progbits
; Kernel info:
; codeLenInByte = 4116
; TotalNumSgprs: 28
; NumVgprs: 65
; ScratchSize: 24
; MemoryBound: 0
; FloatMode: 240
; IeeeMode: 1
; LDSByteSize: 8192 bytes/workgroup (compile time only)
; SGPRBlocks: 0
; VGPRBlocks: 8
; NumSGPRsForWavesPerEU: 28
; NumVGPRsForWavesPerEU: 65
; Occupancy: 12
; WaveLimiterHint : 0
; COMPUTE_PGM_RSRC2:SCRATCH_EN: 1
; COMPUTE_PGM_RSRC2:USER_SGPR: 8
; COMPUTE_PGM_RSRC2:TRAP_HANDLER: 0
; COMPUTE_PGM_RSRC2:TGID_X_EN: 1
; COMPUTE_PGM_RSRC2:TGID_Y_EN: 0
; COMPUTE_PGM_RSRC2:TGID_Z_EN: 0
; COMPUTE_PGM_RSRC2:TIDIG_COMP_CNT: 2
	.section	.text._ZN9rocsparseL32gtsv_interleaved_batch_qr_kernelILj128E21rocsparse_complex_numIdEEEviiiPKT0_PS3_S6_S6_S6_,"axG",@progbits,_ZN9rocsparseL32gtsv_interleaved_batch_qr_kernelILj128E21rocsparse_complex_numIdEEEviiiPKT0_PS3_S6_S6_S6_,comdat
	.globl	_ZN9rocsparseL32gtsv_interleaved_batch_qr_kernelILj128E21rocsparse_complex_numIdEEEviiiPKT0_PS3_S6_S6_S6_ ; -- Begin function _ZN9rocsparseL32gtsv_interleaved_batch_qr_kernelILj128E21rocsparse_complex_numIdEEEviiiPKT0_PS3_S6_S6_S6_
	.p2align	8
	.type	_ZN9rocsparseL32gtsv_interleaved_batch_qr_kernelILj128E21rocsparse_complex_numIdEEEviiiPKT0_PS3_S6_S6_S6_,@function
_ZN9rocsparseL32gtsv_interleaved_batch_qr_kernelILj128E21rocsparse_complex_numIdEEEviiiPKT0_PS3_S6_S6_S6_: ; @_ZN9rocsparseL32gtsv_interleaved_batch_qr_kernelILj128E21rocsparse_complex_numIdEEEviiiPKT0_PS3_S6_S6_S6_
; %bb.0:
	s_load_dwordx4 s[16:19], s[4:5], 0x0
	s_lshl_b32 s1, s6, 7
	s_mov_b32 s0, exec_lo
	v_or_b32_e32 v21, s1, v0
	s_waitcnt lgkmcnt(0)
	v_cmpx_gt_i32_e64 s17, v21
	s_cbranch_execz .LBB11_13
; %bb.1:
	s_load_dwordx8 s[8:15], s[4:5], 0x18
	s_add_i32 s6, s16, -1
	s_cmp_lt_i32 s16, 2
	s_cbranch_scc1 .LBB11_10
; %bb.2:
	v_ashrrev_i32_e32 v22, 31, v21
	s_load_dwordx2 s[2:3], s[4:5], 0x10
	v_mov_b32_e32 v29, v21
	s_mov_b32 s4, s6
	v_lshlrev_b64 v[1:2], 4, v[21:22]
	v_mov_b32_e32 v22, v21
	s_waitcnt lgkmcnt(0)
	v_add_co_u32 v3, vcc_lo, s8, v1
	v_add_co_ci_u32_e64 v4, null, s9, v2, vcc_lo
	v_add_co_u32 v5, vcc_lo, s10, v1
	v_add_co_ci_u32_e64 v6, null, s11, v2, vcc_lo
	global_load_dwordx4 v[1:4], v[3:4], off
	global_load_dwordx4 v[5:8], v[5:6], off
	s_branch .LBB11_4
.LBB11_3:                               ;   in Loop: Header=BB11_4 Depth=1
	s_or_b32 exec_lo, exec_lo, s0
	v_cmp_gt_f64_e32 vcc_lo, 0x10000000, v[36:37]
	v_add_co_u32 v42, s0, s14, v30
	v_add_co_ci_u32_e64 v43, null, s15, v31, s0
	v_ashrrev_i32_e32 v30, 31, v29
	s_add_i32 s4, s4, -1
	s_cmp_eq_u32 s4, 0
	v_lshlrev_b64 v[62:63], 4, v[29:30]
	v_cndmask_b32_e64 v23, 0, 0x100, vcc_lo
	v_ldexp_f64 v[35:36], v[36:37], v23
	v_cndmask_b32_e64 v23, 0, 0xffffff80, vcc_lo
	v_rsq_f64_e32 v[32:33], v[35:36]
	v_cmp_class_f64_e64 vcc_lo, v[35:36], 0x260
	v_mul_f64 v[37:38], v[35:36], v[32:33]
	v_mul_f64 v[32:33], v[32:33], 0.5
	v_fma_f64 v[39:40], -v[32:33], v[37:38], 0.5
	v_fma_f64 v[37:38], v[37:38], v[39:40], v[37:38]
	v_fma_f64 v[32:33], v[32:33], v[39:40], v[32:33]
	v_fma_f64 v[39:40], -v[37:38], v[37:38], v[35:36]
	v_fma_f64 v[37:38], v[39:40], v[32:33], v[37:38]
	v_fma_f64 v[39:40], -v[37:38], v[37:38], v[35:36]
	v_fma_f64 v[37:38], v[39:40], v[32:33], v[37:38]
	global_load_dwordx4 v[31:34], v[42:43], off
	v_ldexp_f64 v[37:38], v[37:38], v23
	v_ashrrev_i32_e32 v23, 31, v22
	v_cndmask_b32_e32 v36, v38, v36, vcc_lo
	v_cndmask_b32_e32 v35, v37, v35, vcc_lo
	v_fma_f64 v[37:38], v[35:36], v[35:36], 0
	v_div_scale_f64 v[39:40], null, v[37:38], v[37:38], 1.0
	v_div_scale_f64 v[48:49], vcc_lo, 1.0, v[37:38], 1.0
	v_rcp_f64_e32 v[44:45], v[39:40]
	v_fma_f64 v[46:47], -v[39:40], v[44:45], 1.0
	v_fma_f64 v[44:45], v[44:45], v[46:47], v[44:45]
	v_fma_f64 v[46:47], -v[39:40], v[44:45], 1.0
	v_fma_f64 v[44:45], v[44:45], v[46:47], v[44:45]
	v_mul_f64 v[46:47], v[48:49], v[44:45]
	v_fma_f64 v[39:40], -v[39:40], v[46:47], v[48:49]
	v_mul_f64 v[48:49], 0x80000000, v[17:18]
	v_div_fmas_f64 v[39:40], v[39:40], v[44:45], v[46:47]
	v_mul_f64 v[44:45], 0x80000000, v[1:2]
	v_mul_f64 v[46:47], 0x80000000, v[19:20]
	v_fma_f64 v[48:49], -v[19:20], v[35:36], v[48:49]
	v_div_fixup_f64 v[37:38], v[39:40], v[37:38], 1.0
	v_mul_f64 v[39:40], 0x80000000, v[3:4]
	v_fma_f64 v[44:45], -v[3:4], v[35:36], v[44:45]
	v_fma_f64 v[46:47], v[17:18], v[35:36], v[46:47]
	v_mul_f64 v[48:49], v[48:49], v[37:38]
	v_fma_f64 v[35:36], v[1:2], v[35:36], v[39:40]
	v_mul_f64 v[39:40], v[44:45], v[37:38]
	v_mul_f64 v[44:45], v[46:47], v[37:38]
	s_waitcnt vmcnt(2)
	v_mul_f64 v[54:55], v[48:49], -v[15:16]
	v_mul_f64 v[52:53], v[35:36], v[37:38]
	v_mul_f64 v[35:36], v[15:16], v[39:40]
	v_mul_f64 v[37:38], v[13:14], -v[39:40]
	v_mul_f64 v[56:57], v[13:14], v[48:49]
	v_mul_f64 v[46:47], v[48:49], -v[19:20]
	v_mul_f64 v[50:51], v[17:18], v[48:49]
	v_fma_f64 v[29:30], v[13:14], v[52:53], v[35:36]
	v_fma_f64 v[35:36], v[15:16], v[52:53], v[37:38]
	;; [unrolled: 1-line block ×4, first 2 shown]
	v_add_co_u32 v56, vcc_lo, s14, v62
	v_add_co_ci_u32_e64 v57, null, s15, v63, vcc_lo
	v_fma_f64 v[17:18], v[17:18], v[44:45], v[46:47]
	v_fma_f64 v[19:20], v[19:20], v[44:45], v[50:51]
	global_load_dwordx4 v[13:16], v[56:57], off
	s_waitcnt vmcnt(1)
	v_mul_f64 v[58:59], v[48:49], -v[33:34]
	v_mul_f64 v[60:61], v[48:49], v[31:32]
	v_mul_f64 v[46:47], v[39:40], v[33:34]
	v_mul_f64 v[50:51], v[31:32], -v[39:40]
	v_fma_f64 v[29:30], -v[5:6], v[44:45], v[29:30]
	v_fma_f64 v[17:18], v[1:2], v[52:53], v[17:18]
	v_fma_f64 v[19:20], v[3:4], v[52:53], v[19:20]
	;; [unrolled: 1-line block ×6, first 2 shown]
	v_fma_f64 v[31:32], -v[7:8], v[44:45], v[35:36]
	v_fma_f64 v[33:34], v[5:6], v[52:53], v[37:38]
	v_fma_f64 v[35:36], v[7:8], v[52:53], v[54:55]
	v_mul_f64 v[37:38], v[48:49], -v[11:12]
	v_mul_f64 v[54:55], v[9:10], v[48:49]
	v_fma_f64 v[17:18], -v[3:4], v[39:40], v[17:18]
	v_fma_f64 v[19:20], v[1:2], v[39:40], v[19:20]
	v_fma_f64 v[1:2], v[7:8], -v[48:49], v[29:30]
	v_mov_b32_e32 v29, v24
	v_fma_f64 v[3:4], v[5:6], v[48:49], v[31:32]
	v_fma_f64 v[30:31], -v[7:8], v[39:40], v[33:34]
	v_fma_f64 v[32:33], v[5:6], v[39:40], v[35:36]
	v_mul_f64 v[5:6], v[11:12], v[39:40]
	v_mul_f64 v[7:8], v[9:10], -v[39:40]
	v_fma_f64 v[34:35], v[9:10], v[44:45], v[37:38]
	v_fma_f64 v[36:37], v[11:12], v[44:45], v[54:55]
	;; [unrolled: 1-line block ×4, first 2 shown]
	s_waitcnt vmcnt(0)
	v_fma_f64 v[58:59], v[13:14], v[52:53], v[58:59]
	v_fma_f64 v[60:61], v[15:16], v[52:53], v[60:61]
	v_fma_f64 v[46:47], -v[13:14], v[44:45], v[46:47]
	v_fma_f64 v[50:51], -v[15:16], v[44:45], v[50:51]
	v_fma_f64 v[9:10], -v[15:16], v[39:40], v[58:59]
	v_fma_f64 v[11:12], v[13:14], v[39:40], v[60:61]
	v_fma_f64 v[38:39], v[15:16], -v[48:49], v[46:47]
	v_fma_f64 v[40:41], v[13:14], v[48:49], v[50:51]
	v_lshlrev_b64 v[13:14], 4, v[22:23]
	v_add_co_u32 v15, vcc_lo, s8, v62
	v_add_co_ci_u32_e64 v16, null, s9, v63, vcc_lo
	v_add_nc_u32_e32 v22, s17, v22
	v_add_co_u32 v13, vcc_lo, s12, v13
	v_add_co_ci_u32_e64 v14, null, s13, v14, vcc_lo
	v_add_co_u32 v44, vcc_lo, s10, v62
	v_add_co_ci_u32_e64 v45, null, s11, v63, vcc_lo
	global_store_dwordx4 v[13:14], v[34:37], off
	global_store_dwordx4 v[15:16], v[17:20], off
	;; [unrolled: 1-line block ×7, first 2 shown]
	s_cbranch_scc1 .LBB11_10
.LBB11_4:                               ; =>This Inner Loop Header: Depth=1
	v_add_nc_u32_e32 v24, s18, v29
	s_waitcnt vmcnt(1)
	v_mul_f64 v[32:33], v[1:2], -v[3:4]
	v_mul_f64 v[36:37], v[3:4], v[3:4]
	s_mov_b32 s0, exec_lo
	v_ashrrev_i32_e32 v25, 31, v24
	v_lshlrev_b64 v[30:31], 4, v[24:25]
	v_add_co_u32 v9, vcc_lo, s2, v30
	v_add_co_ci_u32_e64 v10, null, s3, v31, vcc_lo
	v_add_co_u32 v25, vcc_lo, s8, v30
	v_add_co_ci_u32_e64 v26, null, s9, v31, vcc_lo
	global_load_dwordx4 v[17:20], v[9:10], off
	v_add_co_u32 v27, vcc_lo, s10, v30
	v_add_co_ci_u32_e64 v28, null, s11, v31, vcc_lo
	global_load_dwordx4 v[13:16], v[25:26], off
	global_load_dwordx4 v[9:12], v[27:28], off
	v_fma_f64 v[32:33], v[3:4], v[1:2], v[32:33]
	v_fma_f64 v[36:37], v[1:2], v[1:2], v[36:37]
	s_waitcnt vmcnt(2)
	v_mul_f64 v[34:35], v[17:18], -v[19:20]
	v_mul_f64 v[38:39], v[19:20], v[19:20]
	v_fma_f64 v[34:35], v[19:20], v[17:18], v[34:35]
	v_fma_f64 v[40:41], v[17:18], v[17:18], v[38:39]
	v_add_f64 v[38:39], v[34:35], v[32:33]
	v_add_f64 v[32:33], v[40:41], v[36:37]
                                        ; implicit-def: $vgpr36_vgpr37
	v_cmp_gt_f64_e32 vcc_lo, 0, v[38:39]
	v_xor_b32_e32 v23, 0x80000000, v39
	v_mov_b32_e32 v34, v38
	v_cndmask_b32_e32 v35, v39, v23, vcc_lo
	v_cmpx_ngt_f64_e32 v[32:33], v[34:35]
	s_xor_b32 s0, exec_lo, s0
	s_cbranch_execz .LBB11_8
; %bb.5:                                ;   in Loop: Header=BB11_4 Depth=1
	v_mov_b32_e32 v36, 0
	v_mov_b32_e32 v37, 0
	s_mov_b32 s5, exec_lo
	v_cmpx_neq_f64_e32 0, v[38:39]
	s_cbranch_execz .LBB11_7
; %bb.6:                                ;   in Loop: Header=BB11_4 Depth=1
	v_div_scale_f64 v[36:37], null, v[34:35], v[34:35], v[32:33]
	v_div_scale_f64 v[42:43], vcc_lo, v[32:33], v[34:35], v[32:33]
	v_rcp_f64_e32 v[38:39], v[36:37]
	v_fma_f64 v[40:41], -v[36:37], v[38:39], 1.0
	v_fma_f64 v[38:39], v[38:39], v[40:41], v[38:39]
	v_fma_f64 v[40:41], -v[36:37], v[38:39], 1.0
	v_fma_f64 v[38:39], v[38:39], v[40:41], v[38:39]
	v_mul_f64 v[40:41], v[42:43], v[38:39]
	v_fma_f64 v[36:37], -v[36:37], v[40:41], v[42:43]
	v_div_fmas_f64 v[36:37], v[36:37], v[38:39], v[40:41]
	v_div_fixup_f64 v[32:33], v[36:37], v[34:35], v[32:33]
	v_fma_f64 v[32:33], v[32:33], v[32:33], 1.0
	v_cmp_gt_f64_e32 vcc_lo, 0x10000000, v[32:33]
	v_cndmask_b32_e64 v23, 0, 0x100, vcc_lo
	v_ldexp_f64 v[32:33], v[32:33], v23
	v_cndmask_b32_e64 v23, 0, 0xffffff80, vcc_lo
	v_rsq_f64_e32 v[36:37], v[32:33]
	v_cmp_class_f64_e64 vcc_lo, v[32:33], 0x260
	v_mul_f64 v[38:39], v[32:33], v[36:37]
	v_mul_f64 v[36:37], v[36:37], 0.5
	v_fma_f64 v[40:41], -v[36:37], v[38:39], 0.5
	v_fma_f64 v[38:39], v[38:39], v[40:41], v[38:39]
	v_fma_f64 v[36:37], v[36:37], v[40:41], v[36:37]
	v_fma_f64 v[40:41], -v[38:39], v[38:39], v[32:33]
	v_fma_f64 v[38:39], v[40:41], v[36:37], v[38:39]
	v_fma_f64 v[40:41], -v[38:39], v[38:39], v[32:33]
	v_fma_f64 v[36:37], v[40:41], v[36:37], v[38:39]
	v_ldexp_f64 v[36:37], v[36:37], v23
	v_cndmask_b32_e32 v33, v37, v33, vcc_lo
	v_cndmask_b32_e32 v32, v36, v32, vcc_lo
	v_mul_f64 v[36:37], v[34:35], v[32:33]
.LBB11_7:                               ;   in Loop: Header=BB11_4 Depth=1
	s_or_b32 exec_lo, exec_lo, s5
                                        ; implicit-def: $vgpr32_vgpr33
                                        ; implicit-def: $vgpr34_vgpr35
.LBB11_8:                               ;   in Loop: Header=BB11_4 Depth=1
	s_andn2_saveexec_b32 s0, s0
	s_cbranch_execz .LBB11_3
; %bb.9:                                ;   in Loop: Header=BB11_4 Depth=1
	v_div_scale_f64 v[36:37], null, v[32:33], v[32:33], v[34:35]
	v_div_scale_f64 v[42:43], vcc_lo, v[34:35], v[32:33], v[34:35]
	v_rcp_f64_e32 v[38:39], v[36:37]
	v_fma_f64 v[40:41], -v[36:37], v[38:39], 1.0
	v_fma_f64 v[38:39], v[38:39], v[40:41], v[38:39]
	v_fma_f64 v[40:41], -v[36:37], v[38:39], 1.0
	v_fma_f64 v[38:39], v[38:39], v[40:41], v[38:39]
	v_mul_f64 v[40:41], v[42:43], v[38:39]
	v_fma_f64 v[36:37], -v[36:37], v[40:41], v[42:43]
	v_div_fmas_f64 v[36:37], v[36:37], v[38:39], v[40:41]
	v_div_fixup_f64 v[34:35], v[36:37], v[32:33], v[34:35]
	v_fma_f64 v[34:35], v[34:35], v[34:35], 1.0
	v_cmp_gt_f64_e32 vcc_lo, 0x10000000, v[34:35]
	v_cndmask_b32_e64 v23, 0, 0x100, vcc_lo
	v_ldexp_f64 v[34:35], v[34:35], v23
	v_cndmask_b32_e64 v23, 0, 0xffffff80, vcc_lo
	v_rsq_f64_e32 v[36:37], v[34:35]
	v_cmp_class_f64_e64 vcc_lo, v[34:35], 0x260
	v_mul_f64 v[38:39], v[34:35], v[36:37]
	v_mul_f64 v[36:37], v[36:37], 0.5
	v_fma_f64 v[40:41], -v[36:37], v[38:39], 0.5
	v_fma_f64 v[38:39], v[38:39], v[40:41], v[38:39]
	v_fma_f64 v[36:37], v[36:37], v[40:41], v[36:37]
	v_fma_f64 v[40:41], -v[38:39], v[38:39], v[34:35]
	v_fma_f64 v[38:39], v[40:41], v[36:37], v[38:39]
	v_fma_f64 v[40:41], -v[38:39], v[38:39], v[34:35]
	v_fma_f64 v[36:37], v[40:41], v[36:37], v[38:39]
	v_ldexp_f64 v[36:37], v[36:37], v23
	v_cndmask_b32_e32 v35, v37, v35, vcc_lo
	v_cndmask_b32_e32 v34, v36, v34, vcc_lo
	v_mul_f64 v[36:37], v[32:33], v[34:35]
	s_branch .LBB11_3
.LBB11_10:
	s_mul_i32 s0, s18, s6
	v_add_nc_u32_e32 v1, s0, v21
	s_sub_i32 s2, s0, s18
	s_cmp_lt_i32 s16, 3
	v_ashrrev_i32_e32 v2, 31, v1
	v_lshlrev_b64 v[5:6], 4, v[1:2]
	s_waitcnt lgkmcnt(0)
	v_add_co_u32 v1, vcc_lo, s8, v5
	v_add_co_ci_u32_e64 v2, null, s9, v6, vcc_lo
	v_add_co_u32 v13, vcc_lo, s14, v5
	v_add_co_ci_u32_e64 v14, null, s15, v6, vcc_lo
	global_load_dwordx4 v[1:4], v[1:2], off
	global_load_dwordx4 v[5:8], v[13:14], off
	s_waitcnt vmcnt(1)
	v_mul_f64 v[9:10], v[3:4], v[3:4]
	v_fma_f64 v[15:16], v[1:2], v[1:2], v[9:10]
	v_add_nc_u32_e32 v9, s2, v21
	v_ashrrev_i32_e32 v10, 31, v9
	v_lshlrev_b64 v[22:23], 4, v[9:10]
	v_add_co_u32 v9, vcc_lo, s8, v22
	v_add_co_ci_u32_e64 v10, null, s9, v23, vcc_lo
	v_div_scale_f64 v[17:18], null, v[15:16], v[15:16], 1.0
	global_load_dwordx4 v[9:12], v[9:10], off
	v_div_scale_f64 v[26:27], vcc_lo, 1.0, v[15:16], 1.0
	v_rcp_f64_e32 v[19:20], v[17:18]
	v_fma_f64 v[24:25], -v[17:18], v[19:20], 1.0
	v_fma_f64 v[19:20], v[19:20], v[24:25], v[19:20]
	v_fma_f64 v[24:25], -v[17:18], v[19:20], 1.0
	v_fma_f64 v[19:20], v[19:20], v[24:25], v[19:20]
	v_mul_f64 v[24:25], v[26:27], v[19:20]
	v_fma_f64 v[17:18], -v[17:18], v[24:25], v[26:27]
	s_waitcnt vmcnt(1)
	v_mul_f64 v[26:27], v[3:4], v[7:8]
	v_mul_f64 v[3:4], v[3:4], -v[5:6]
	v_div_fmas_f64 v[17:18], v[17:18], v[19:20], v[24:25]
	v_add_co_u32 v19, vcc_lo, s10, v22
	v_add_co_ci_u32_e64 v20, null, s11, v23, vcc_lo
	v_fma_f64 v[5:6], v[5:6], v[1:2], v[26:27]
	v_fma_f64 v[7:8], v[7:8], v[1:2], v[3:4]
	global_load_dwordx4 v[1:4], v[19:20], off
	v_div_fixup_f64 v[15:16], v[17:18], v[15:16], 1.0
	v_add_co_u32 v17, vcc_lo, s14, v22
	v_add_co_ci_u32_e64 v18, null, s15, v23, vcc_lo
	v_mul_f64 v[5:6], v[15:16], v[5:6]
	v_mul_f64 v[7:8], v[15:16], v[7:8]
	global_store_dwordx4 v[13:14], v[5:8], off
	global_load_dwordx4 v[13:16], v[17:18], off
	s_waitcnt vmcnt(2)
	v_mul_f64 v[19:20], v[11:12], v[11:12]
	v_fma_f64 v[19:20], v[9:10], v[9:10], v[19:20]
	v_div_scale_f64 v[22:23], null, v[19:20], v[19:20], 1.0
	v_div_scale_f64 v[28:29], vcc_lo, 1.0, v[19:20], 1.0
	v_rcp_f64_e32 v[24:25], v[22:23]
	v_fma_f64 v[26:27], -v[22:23], v[24:25], 1.0
	v_fma_f64 v[24:25], v[24:25], v[26:27], v[24:25]
	v_fma_f64 v[26:27], -v[22:23], v[24:25], 1.0
	v_fma_f64 v[24:25], v[24:25], v[26:27], v[24:25]
	v_mul_f64 v[30:31], v[28:29], v[24:25]
	s_waitcnt vmcnt(1)
	v_mul_f64 v[26:27], v[7:8], v[1:2]
	v_mul_f64 v[7:8], v[7:8], -v[3:4]
	v_fma_f64 v[3:4], v[3:4], v[5:6], v[26:27]
	v_fma_f64 v[1:2], v[1:2], v[5:6], v[7:8]
	v_fma_f64 v[5:6], -v[22:23], v[30:31], v[28:29]
	v_div_fmas_f64 v[5:6], v[5:6], v[24:25], v[30:31]
	s_waitcnt vmcnt(0)
	v_add_f64 v[3:4], v[15:16], -v[3:4]
	v_add_f64 v[1:2], v[13:14], -v[1:2]
	v_div_fixup_f64 v[5:6], v[5:6], v[19:20], 1.0
	v_mul_f64 v[7:8], v[3:4], v[11:12]
	v_mul_f64 v[11:12], v[11:12], -v[1:2]
	v_fma_f64 v[1:2], v[1:2], v[9:10], v[7:8]
	v_fma_f64 v[3:4], v[3:4], v[9:10], v[11:12]
	v_mul_f64 v[1:2], v[1:2], v[5:6]
	v_mul_f64 v[3:4], v[3:4], v[5:6]
	global_store_dwordx4 v[17:18], v[1:4], off
	s_cbranch_scc1 .LBB11_13
; %bb.11:
	s_add_i32 s3, s16, -3
	s_add_i32 s2, s16, -2
	s_mul_i32 s4, s17, s3
	s_mul_i32 s3, s18, s3
	v_add3_u32 v0, s1, s4, v0
	s_mul_i32 s1, s18, s2
.LBB11_12:                              ; =>This Inner Loop Header: Depth=1
	v_add_nc_u32_e32 v1, s3, v21
	v_add_nc_u32_e32 v6, s1, v21
	;; [unrolled: 1-line block ×3, first 2 shown]
	v_subrev_nc_u32_e32 v21, s18, v21
	s_add_i32 s2, s2, -1
	v_ashrrev_i32_e32 v2, 31, v1
	v_ashrrev_i32_e32 v7, 31, v6
	;; [unrolled: 1-line block ×3, first 2 shown]
	s_cmp_lg_u32 s2, 0
	v_lshlrev_b64 v[18:19], 4, v[1:2]
	v_lshlrev_b64 v[6:7], 4, v[6:7]
	;; [unrolled: 1-line block ×3, first 2 shown]
	v_add_co_u32 v1, vcc_lo, s8, v18
	v_add_co_ci_u32_e64 v2, null, s9, v19, vcc_lo
	v_add_co_u32 v6, vcc_lo, s14, v6
	v_add_co_ci_u32_e64 v7, null, s15, v7, vcc_lo
	global_load_dwordx4 v[2:5], v[1:2], off
	v_add_co_u32 v10, vcc_lo, s10, v18
	v_add_co_ci_u32_e64 v11, null, s11, v19, vcc_lo
	global_load_dwordx4 v[6:9], v[6:7], off
	global_load_dwordx4 v[10:13], v[10:11], off
	v_ashrrev_i32_e32 v1, 31, v0
	v_lshlrev_b64 v[16:17], 4, v[0:1]
	v_subrev_nc_u32_e32 v0, s17, v0
	v_add_co_u32 v16, vcc_lo, s12, v16
	v_add_co_ci_u32_e64 v17, null, s13, v17, vcc_lo
	v_add_co_u32 v22, vcc_lo, s14, v14
	v_add_co_ci_u32_e64 v23, null, s15, v15, vcc_lo
	global_load_dwordx4 v[14:17], v[16:17], off
	global_load_dwordx4 v[22:25], v[22:23], off
	v_add_co_u32 v18, vcc_lo, s14, v18
	v_add_co_ci_u32_e64 v19, null, s15, v19, vcc_lo
	global_load_dwordx4 v[26:29], v[18:19], off
	s_waitcnt vmcnt(5)
	v_mul_f64 v[30:31], v[4:5], v[4:5]
	v_fma_f64 v[30:31], v[2:3], v[2:3], v[30:31]
	s_waitcnt vmcnt(1)
	v_mul_f64 v[40:41], v[24:25], -v[16:17]
	v_mul_f64 v[24:25], v[24:25], v[14:15]
	v_div_scale_f64 v[32:33], null, v[30:31], v[30:31], 1.0
	v_fma_f64 v[14:15], v[14:15], v[22:23], v[40:41]
	v_fma_f64 v[16:17], v[16:17], v[22:23], v[24:25]
	v_rcp_f64_e32 v[34:35], v[32:33]
	v_fma_f64 v[36:37], -v[32:33], v[34:35], 1.0
	v_fma_f64 v[34:35], v[34:35], v[36:37], v[34:35]
	v_mul_f64 v[36:37], v[8:9], v[10:11]
	v_mul_f64 v[8:9], v[8:9], -v[12:13]
	v_fma_f64 v[38:39], -v[32:33], v[34:35], 1.0
	v_fma_f64 v[12:13], v[12:13], v[6:7], v[36:37]
	v_fma_f64 v[6:7], v[10:11], v[6:7], v[8:9]
	v_div_scale_f64 v[8:9], vcc_lo, 1.0, v[30:31], 1.0
	v_fma_f64 v[10:11], v[34:35], v[38:39], v[34:35]
	s_waitcnt vmcnt(0)
	v_add_f64 v[12:13], v[28:29], -v[12:13]
	v_add_f64 v[6:7], v[26:27], -v[6:7]
	v_mul_f64 v[22:23], v[8:9], v[10:11]
	v_add_f64 v[12:13], v[12:13], -v[16:17]
	v_add_f64 v[6:7], v[6:7], -v[14:15]
	v_fma_f64 v[8:9], -v[32:33], v[22:23], v[8:9]
	v_mul_f64 v[14:15], v[4:5], v[12:13]
	v_mul_f64 v[4:5], v[4:5], -v[6:7]
	v_div_fmas_f64 v[8:9], v[8:9], v[10:11], v[22:23]
	v_fma_f64 v[6:7], v[6:7], v[2:3], v[14:15]
	v_fma_f64 v[3:4], v[12:13], v[2:3], v[4:5]
	v_div_fixup_f64 v[8:9], v[8:9], v[30:31], 1.0
	v_mul_f64 v[1:2], v[6:7], v[8:9]
	v_mul_f64 v[3:4], v[8:9], v[3:4]
	global_store_dwordx4 v[18:19], v[1:4], off
	s_cbranch_scc1 .LBB11_12
.LBB11_13:
	s_endpgm
	.section	.rodata,"a",@progbits
	.p2align	6, 0x0
	.amdhsa_kernel _ZN9rocsparseL32gtsv_interleaved_batch_qr_kernelILj128E21rocsparse_complex_numIdEEEviiiPKT0_PS3_S6_S6_S6_
		.amdhsa_group_segment_fixed_size 0
		.amdhsa_private_segment_fixed_size 0
		.amdhsa_kernarg_size 56
		.amdhsa_user_sgpr_count 6
		.amdhsa_user_sgpr_private_segment_buffer 1
		.amdhsa_user_sgpr_dispatch_ptr 0
		.amdhsa_user_sgpr_queue_ptr 0
		.amdhsa_user_sgpr_kernarg_segment_ptr 1
		.amdhsa_user_sgpr_dispatch_id 0
		.amdhsa_user_sgpr_flat_scratch_init 0
		.amdhsa_user_sgpr_private_segment_size 0
		.amdhsa_wavefront_size32 1
		.amdhsa_uses_dynamic_stack 0
		.amdhsa_system_sgpr_private_segment_wavefront_offset 0
		.amdhsa_system_sgpr_workgroup_id_x 1
		.amdhsa_system_sgpr_workgroup_id_y 0
		.amdhsa_system_sgpr_workgroup_id_z 0
		.amdhsa_system_sgpr_workgroup_info 0
		.amdhsa_system_vgpr_workitem_id 0
		.amdhsa_next_free_vgpr 64
		.amdhsa_next_free_sgpr 20
		.amdhsa_reserve_vcc 1
		.amdhsa_reserve_flat_scratch 0
		.amdhsa_float_round_mode_32 0
		.amdhsa_float_round_mode_16_64 0
		.amdhsa_float_denorm_mode_32 3
		.amdhsa_float_denorm_mode_16_64 3
		.amdhsa_dx10_clamp 1
		.amdhsa_ieee_mode 1
		.amdhsa_fp16_overflow 0
		.amdhsa_workgroup_processor_mode 1
		.amdhsa_memory_ordered 1
		.amdhsa_forward_progress 1
		.amdhsa_shared_vgpr_count 0
		.amdhsa_exception_fp_ieee_invalid_op 0
		.amdhsa_exception_fp_denorm_src 0
		.amdhsa_exception_fp_ieee_div_zero 0
		.amdhsa_exception_fp_ieee_overflow 0
		.amdhsa_exception_fp_ieee_underflow 0
		.amdhsa_exception_fp_ieee_inexact 0
		.amdhsa_exception_int_div_zero 0
	.end_amdhsa_kernel
	.section	.text._ZN9rocsparseL32gtsv_interleaved_batch_qr_kernelILj128E21rocsparse_complex_numIdEEEviiiPKT0_PS3_S6_S6_S6_,"axG",@progbits,_ZN9rocsparseL32gtsv_interleaved_batch_qr_kernelILj128E21rocsparse_complex_numIdEEEviiiPKT0_PS3_S6_S6_S6_,comdat
.Lfunc_end11:
	.size	_ZN9rocsparseL32gtsv_interleaved_batch_qr_kernelILj128E21rocsparse_complex_numIdEEEviiiPKT0_PS3_S6_S6_S6_, .Lfunc_end11-_ZN9rocsparseL32gtsv_interleaved_batch_qr_kernelILj128E21rocsparse_complex_numIdEEEviiiPKT0_PS3_S6_S6_S6_
                                        ; -- End function
	.set _ZN9rocsparseL32gtsv_interleaved_batch_qr_kernelILj128E21rocsparse_complex_numIdEEEviiiPKT0_PS3_S6_S6_S6_.num_vgpr, 64
	.set _ZN9rocsparseL32gtsv_interleaved_batch_qr_kernelILj128E21rocsparse_complex_numIdEEEviiiPKT0_PS3_S6_S6_S6_.num_agpr, 0
	.set _ZN9rocsparseL32gtsv_interleaved_batch_qr_kernelILj128E21rocsparse_complex_numIdEEEviiiPKT0_PS3_S6_S6_S6_.numbered_sgpr, 20
	.set _ZN9rocsparseL32gtsv_interleaved_batch_qr_kernelILj128E21rocsparse_complex_numIdEEEviiiPKT0_PS3_S6_S6_S6_.num_named_barrier, 0
	.set _ZN9rocsparseL32gtsv_interleaved_batch_qr_kernelILj128E21rocsparse_complex_numIdEEEviiiPKT0_PS3_S6_S6_S6_.private_seg_size, 0
	.set _ZN9rocsparseL32gtsv_interleaved_batch_qr_kernelILj128E21rocsparse_complex_numIdEEEviiiPKT0_PS3_S6_S6_S6_.uses_vcc, 1
	.set _ZN9rocsparseL32gtsv_interleaved_batch_qr_kernelILj128E21rocsparse_complex_numIdEEEviiiPKT0_PS3_S6_S6_S6_.uses_flat_scratch, 0
	.set _ZN9rocsparseL32gtsv_interleaved_batch_qr_kernelILj128E21rocsparse_complex_numIdEEEviiiPKT0_PS3_S6_S6_S6_.has_dyn_sized_stack, 0
	.set _ZN9rocsparseL32gtsv_interleaved_batch_qr_kernelILj128E21rocsparse_complex_numIdEEEviiiPKT0_PS3_S6_S6_S6_.has_recursion, 0
	.set _ZN9rocsparseL32gtsv_interleaved_batch_qr_kernelILj128E21rocsparse_complex_numIdEEEviiiPKT0_PS3_S6_S6_S6_.has_indirect_call, 0
	.section	.AMDGPU.csdata,"",@progbits
; Kernel info:
; codeLenInByte = 2896
; TotalNumSgprs: 22
; NumVgprs: 64
; ScratchSize: 0
; MemoryBound: 1
; FloatMode: 240
; IeeeMode: 1
; LDSByteSize: 0 bytes/workgroup (compile time only)
; SGPRBlocks: 0
; VGPRBlocks: 7
; NumSGPRsForWavesPerEU: 22
; NumVGPRsForWavesPerEU: 64
; Occupancy: 16
; WaveLimiterHint : 0
; COMPUTE_PGM_RSRC2:SCRATCH_EN: 0
; COMPUTE_PGM_RSRC2:USER_SGPR: 6
; COMPUTE_PGM_RSRC2:TRAP_HANDLER: 0
; COMPUTE_PGM_RSRC2:TGID_X_EN: 1
; COMPUTE_PGM_RSRC2:TGID_Y_EN: 0
; COMPUTE_PGM_RSRC2:TGID_Z_EN: 0
; COMPUTE_PGM_RSRC2:TIDIG_COMP_CNT: 0
	.section	.AMDGPU.gpr_maximums,"",@progbits
	.set amdgpu.max_num_vgpr, 0
	.set amdgpu.max_num_agpr, 0
	.set amdgpu.max_num_sgpr, 0
	.section	.AMDGPU.csdata,"",@progbits
	.type	__hip_cuid_f2b5618bbda31ce7,@object ; @__hip_cuid_f2b5618bbda31ce7
	.section	.bss,"aw",@nobits
	.globl	__hip_cuid_f2b5618bbda31ce7
__hip_cuid_f2b5618bbda31ce7:
	.byte	0                               ; 0x0
	.size	__hip_cuid_f2b5618bbda31ce7, 1

	.ident	"AMD clang version 22.0.0git (https://github.com/RadeonOpenCompute/llvm-project roc-7.2.4 26084 f58b06dce1f9c15707c5f808fd002e18c2accf7e)"
	.section	".note.GNU-stack","",@progbits
	.addrsig
	.addrsig_sym __hip_cuid_f2b5618bbda31ce7
	.amdgpu_metadata
---
amdhsa.kernels:
  - .args:
      - .offset:         0
        .size:           4
        .value_kind:     by_value
      - .offset:         4
        .size:           4
        .value_kind:     by_value
      - .offset:         8
        .size:           4
        .value_kind:     by_value
      - .actual_access:  read_only
        .address_space:  global
        .offset:         16
        .size:           8
        .value_kind:     global_buffer
      - .actual_access:  read_only
        .address_space:  global
        .offset:         24
        .size:           8
        .value_kind:     global_buffer
      - .actual_access:  read_only
        .address_space:  global
        .offset:         32
        .size:           8
        .value_kind:     global_buffer
      - .address_space:  global
        .offset:         40
        .size:           8
        .value_kind:     global_buffer
      - .address_space:  global
        .offset:         48
        .size:           8
        .value_kind:     global_buffer
      - .address_space:  global
        .offset:         56
        .size:           8
        .value_kind:     global_buffer
    .group_segment_fixed_size: 0
    .kernarg_segment_align: 8
    .kernarg_segment_size: 64
    .language:       OpenCL C
    .language_version:
      - 2
      - 0
    .max_flat_workgroup_size: 128
    .name:           _ZN9rocsparseL36gtsv_interleaved_batch_thomas_kernelILj128EfEEviiiPKT0_S3_S3_PS1_S4_S4_
    .private_segment_fixed_size: 0
    .sgpr_count:     30
    .sgpr_spill_count: 0
    .symbol:         _ZN9rocsparseL36gtsv_interleaved_batch_thomas_kernelILj128EfEEviiiPKT0_S3_S3_PS1_S4_S4_.kd
    .uniform_work_group_size: 1
    .uses_dynamic_stack: false
    .vgpr_count:     27
    .vgpr_spill_count: 0
    .wavefront_size: 32
    .workgroup_processor_mode: 1
  - .args:
      - .offset:         0
        .size:           4
        .value_kind:     by_value
      - .offset:         4
        .size:           4
        .value_kind:     by_value
      - .offset:         8
        .size:           4
        .value_kind:     by_value
      - .address_space:  global
        .offset:         16
        .size:           8
        .value_kind:     global_buffer
      - .address_space:  global
        .offset:         24
        .size:           8
        .value_kind:     global_buffer
      - .address_space:  global
        .offset:         32
        .size:           8
        .value_kind:     global_buffer
      - .address_space:  global
        .offset:         40
        .size:           8
        .value_kind:     global_buffer
      - .address_space:  global
        .offset:         48
        .size:           8
        .value_kind:     global_buffer
      - .address_space:  global
        .offset:         56
        .size:           8
        .value_kind:     global_buffer
    .group_segment_fixed_size: 0
    .kernarg_segment_align: 8
    .kernarg_segment_size: 64
    .language:       OpenCL C
    .language_version:
      - 2
      - 0
    .max_flat_workgroup_size: 128
    .name:           _ZN9rocsparseL32gtsv_interleaved_batch_lu_kernelILj128EfEEviiiPT0_S2_S2_S2_PiS2_
    .private_segment_fixed_size: 0
    .sgpr_count:     24
    .sgpr_spill_count: 0
    .symbol:         _ZN9rocsparseL32gtsv_interleaved_batch_lu_kernelILj128EfEEviiiPT0_S2_S2_S2_PiS2_.kd
    .uniform_work_group_size: 1
    .uses_dynamic_stack: false
    .vgpr_count:     35
    .vgpr_spill_count: 0
    .wavefront_size: 32
    .workgroup_processor_mode: 1
  - .args:
      - .offset:         0
        .size:           4
        .value_kind:     by_value
      - .offset:         4
        .size:           4
        .value_kind:     by_value
      - .offset:         8
        .size:           4
        .value_kind:     by_value
      - .actual_access:  read_only
        .address_space:  global
        .offset:         16
        .size:           8
        .value_kind:     global_buffer
      - .address_space:  global
        .offset:         24
        .size:           8
        .value_kind:     global_buffer
      - .address_space:  global
        .offset:         32
        .size:           8
        .value_kind:     global_buffer
      - .address_space:  global
        .offset:         40
        .size:           8
        .value_kind:     global_buffer
      - .address_space:  global
        .offset:         48
        .size:           8
        .value_kind:     global_buffer
    .group_segment_fixed_size: 0
    .kernarg_segment_align: 8
    .kernarg_segment_size: 56
    .language:       OpenCL C
    .language_version:
      - 2
      - 0
    .max_flat_workgroup_size: 128
    .name:           _ZN9rocsparseL32gtsv_interleaved_batch_qr_kernelILj128EfEEviiiPKT0_PS1_S4_S4_S4_
    .private_segment_fixed_size: 0
    .sgpr_count:     22
    .sgpr_spill_count: 0
    .symbol:         _ZN9rocsparseL32gtsv_interleaved_batch_qr_kernelILj128EfEEviiiPKT0_PS1_S4_S4_S4_.kd
    .uniform_work_group_size: 1
    .uses_dynamic_stack: false
    .vgpr_count:     36
    .vgpr_spill_count: 0
    .wavefront_size: 32
    .workgroup_processor_mode: 1
  - .args:
      - .offset:         0
        .size:           4
        .value_kind:     by_value
      - .offset:         4
        .size:           4
        .value_kind:     by_value
      - .offset:         8
        .size:           4
        .value_kind:     by_value
      - .actual_access:  read_only
        .address_space:  global
        .offset:         16
        .size:           8
        .value_kind:     global_buffer
      - .actual_access:  read_only
        .address_space:  global
        .offset:         24
        .size:           8
        .value_kind:     global_buffer
      - .actual_access:  read_only
        .address_space:  global
        .offset:         32
        .size:           8
        .value_kind:     global_buffer
      - .address_space:  global
        .offset:         40
        .size:           8
        .value_kind:     global_buffer
      - .address_space:  global
        .offset:         48
        .size:           8
        .value_kind:     global_buffer
      - .address_space:  global
        .offset:         56
        .size:           8
        .value_kind:     global_buffer
    .group_segment_fixed_size: 0
    .kernarg_segment_align: 8
    .kernarg_segment_size: 64
    .language:       OpenCL C
    .language_version:
      - 2
      - 0
    .max_flat_workgroup_size: 128
    .name:           _ZN9rocsparseL36gtsv_interleaved_batch_thomas_kernelILj128EdEEviiiPKT0_S3_S3_PS1_S4_S4_
    .private_segment_fixed_size: 0
    .sgpr_count:     28
    .sgpr_spill_count: 0
    .symbol:         _ZN9rocsparseL36gtsv_interleaved_batch_thomas_kernelILj128EdEEviiiPKT0_S3_S3_PS1_S4_S4_.kd
    .uniform_work_group_size: 1
    .uses_dynamic_stack: false
    .vgpr_count:     30
    .vgpr_spill_count: 0
    .wavefront_size: 32
    .workgroup_processor_mode: 1
  - .args:
      - .offset:         0
        .size:           4
        .value_kind:     by_value
      - .offset:         4
        .size:           4
        .value_kind:     by_value
      - .offset:         8
        .size:           4
        .value_kind:     by_value
      - .address_space:  global
        .offset:         16
        .size:           8
        .value_kind:     global_buffer
      - .address_space:  global
        .offset:         24
        .size:           8
        .value_kind:     global_buffer
      - .address_space:  global
        .offset:         32
        .size:           8
        .value_kind:     global_buffer
      - .address_space:  global
        .offset:         40
        .size:           8
        .value_kind:     global_buffer
      - .address_space:  global
        .offset:         48
        .size:           8
        .value_kind:     global_buffer
      - .address_space:  global
        .offset:         56
        .size:           8
        .value_kind:     global_buffer
    .group_segment_fixed_size: 0
    .kernarg_segment_align: 8
    .kernarg_segment_size: 64
    .language:       OpenCL C
    .language_version:
      - 2
      - 0
    .max_flat_workgroup_size: 128
    .name:           _ZN9rocsparseL32gtsv_interleaved_batch_lu_kernelILj128EdEEviiiPT0_S2_S2_S2_PiS2_
    .private_segment_fixed_size: 0
    .sgpr_count:     24
    .sgpr_spill_count: 0
    .symbol:         _ZN9rocsparseL32gtsv_interleaved_batch_lu_kernelILj128EdEEviiiPT0_S2_S2_S2_PiS2_.kd
    .uniform_work_group_size: 1
    .uses_dynamic_stack: false
    .vgpr_count:     46
    .vgpr_spill_count: 0
    .wavefront_size: 32
    .workgroup_processor_mode: 1
  - .args:
      - .offset:         0
        .size:           4
        .value_kind:     by_value
      - .offset:         4
        .size:           4
        .value_kind:     by_value
      - .offset:         8
        .size:           4
        .value_kind:     by_value
      - .actual_access:  read_only
        .address_space:  global
        .offset:         16
        .size:           8
        .value_kind:     global_buffer
      - .address_space:  global
        .offset:         24
        .size:           8
        .value_kind:     global_buffer
      - .address_space:  global
        .offset:         32
        .size:           8
        .value_kind:     global_buffer
      - .address_space:  global
        .offset:         40
        .size:           8
        .value_kind:     global_buffer
      - .address_space:  global
        .offset:         48
        .size:           8
        .value_kind:     global_buffer
    .group_segment_fixed_size: 0
    .kernarg_segment_align: 8
    .kernarg_segment_size: 56
    .language:       OpenCL C
    .language_version:
      - 2
      - 0
    .max_flat_workgroup_size: 128
    .name:           _ZN9rocsparseL32gtsv_interleaved_batch_qr_kernelILj128EdEEviiiPKT0_PS1_S4_S4_S4_
    .private_segment_fixed_size: 0
    .sgpr_count:     22
    .sgpr_spill_count: 0
    .symbol:         _ZN9rocsparseL32gtsv_interleaved_batch_qr_kernelILj128EdEEviiiPKT0_PS1_S4_S4_S4_.kd
    .uniform_work_group_size: 1
    .uses_dynamic_stack: false
    .vgpr_count:     45
    .vgpr_spill_count: 0
    .wavefront_size: 32
    .workgroup_processor_mode: 1
  - .args:
      - .offset:         0
        .size:           4
        .value_kind:     by_value
      - .offset:         4
        .size:           4
        .value_kind:     by_value
      - .offset:         8
        .size:           4
        .value_kind:     by_value
      - .actual_access:  read_only
        .address_space:  global
        .offset:         16
        .size:           8
        .value_kind:     global_buffer
      - .actual_access:  read_only
        .address_space:  global
        .offset:         24
        .size:           8
        .value_kind:     global_buffer
      - .actual_access:  read_only
        .address_space:  global
        .offset:         32
        .size:           8
        .value_kind:     global_buffer
      - .address_space:  global
        .offset:         40
        .size:           8
        .value_kind:     global_buffer
      - .address_space:  global
        .offset:         48
        .size:           8
        .value_kind:     global_buffer
      - .address_space:  global
        .offset:         56
        .size:           8
        .value_kind:     global_buffer
    .group_segment_fixed_size: 0
    .kernarg_segment_align: 8
    .kernarg_segment_size: 64
    .language:       OpenCL C
    .language_version:
      - 2
      - 0
    .max_flat_workgroup_size: 128
    .name:           _ZN9rocsparseL36gtsv_interleaved_batch_thomas_kernelILj128E21rocsparse_complex_numIfEEEviiiPKT0_S5_S5_PS3_S6_S6_
    .private_segment_fixed_size: 0
    .sgpr_count:     30
    .sgpr_spill_count: 0
    .symbol:         _ZN9rocsparseL36gtsv_interleaved_batch_thomas_kernelILj128E21rocsparse_complex_numIfEEEviiiPKT0_S5_S5_PS3_S6_S6_.kd
    .uniform_work_group_size: 1
    .uses_dynamic_stack: false
    .vgpr_count:     28
    .vgpr_spill_count: 0
    .wavefront_size: 32
    .workgroup_processor_mode: 1
  - .args:
      - .offset:         0
        .size:           4
        .value_kind:     by_value
      - .offset:         4
        .size:           4
        .value_kind:     by_value
      - .offset:         8
        .size:           4
        .value_kind:     by_value
      - .address_space:  global
        .offset:         16
        .size:           8
        .value_kind:     global_buffer
      - .address_space:  global
        .offset:         24
        .size:           8
        .value_kind:     global_buffer
      - .address_space:  global
        .offset:         32
        .size:           8
        .value_kind:     global_buffer
      - .address_space:  global
        .offset:         40
        .size:           8
        .value_kind:     global_buffer
      - .address_space:  global
        .offset:         48
        .size:           8
        .value_kind:     global_buffer
      - .address_space:  global
        .offset:         56
        .size:           8
        .value_kind:     global_buffer
    .group_segment_fixed_size: 0
    .kernarg_segment_align: 8
    .kernarg_segment_size: 64
    .language:       OpenCL C
    .language_version:
      - 2
      - 0
    .max_flat_workgroup_size: 128
    .name:           _ZN9rocsparseL32gtsv_interleaved_batch_lu_kernelILj128E21rocsparse_complex_numIfEEEviiiPT0_S4_S4_S4_PiS4_
    .private_segment_fixed_size: 0
    .sgpr_count:     24
    .sgpr_spill_count: 0
    .symbol:         _ZN9rocsparseL32gtsv_interleaved_batch_lu_kernelILj128E21rocsparse_complex_numIfEEEviiiPT0_S4_S4_S4_PiS4_.kd
    .uniform_work_group_size: 1
    .uses_dynamic_stack: false
    .vgpr_count:     47
    .vgpr_spill_count: 0
    .wavefront_size: 32
    .workgroup_processor_mode: 1
  - .args:
      - .offset:         0
        .size:           4
        .value_kind:     by_value
      - .offset:         4
        .size:           4
        .value_kind:     by_value
      - .offset:         8
        .size:           4
        .value_kind:     by_value
      - .actual_access:  read_only
        .address_space:  global
        .offset:         16
        .size:           8
        .value_kind:     global_buffer
      - .address_space:  global
        .offset:         24
        .size:           8
        .value_kind:     global_buffer
      - .address_space:  global
        .offset:         32
        .size:           8
        .value_kind:     global_buffer
      - .address_space:  global
        .offset:         40
        .size:           8
        .value_kind:     global_buffer
      - .address_space:  global
        .offset:         48
        .size:           8
        .value_kind:     global_buffer
    .group_segment_fixed_size: 0
    .kernarg_segment_align: 8
    .kernarg_segment_size: 56
    .language:       OpenCL C
    .language_version:
      - 2
      - 0
    .max_flat_workgroup_size: 128
    .name:           _ZN9rocsparseL32gtsv_interleaved_batch_qr_kernelILj128E21rocsparse_complex_numIfEEEviiiPKT0_PS3_S6_S6_S6_
    .private_segment_fixed_size: 0
    .sgpr_count:     22
    .sgpr_spill_count: 0
    .symbol:         _ZN9rocsparseL32gtsv_interleaved_batch_qr_kernelILj128E21rocsparse_complex_numIfEEEviiiPKT0_PS3_S6_S6_S6_.kd
    .uniform_work_group_size: 1
    .uses_dynamic_stack: false
    .vgpr_count:     44
    .vgpr_spill_count: 0
    .wavefront_size: 32
    .workgroup_processor_mode: 1
  - .args:
      - .offset:         0
        .size:           4
        .value_kind:     by_value
      - .offset:         4
        .size:           4
        .value_kind:     by_value
      - .offset:         8
        .size:           4
        .value_kind:     by_value
      - .actual_access:  read_only
        .address_space:  global
        .offset:         16
        .size:           8
        .value_kind:     global_buffer
      - .actual_access:  read_only
        .address_space:  global
        .offset:         24
        .size:           8
        .value_kind:     global_buffer
      - .actual_access:  read_only
        .address_space:  global
        .offset:         32
        .size:           8
        .value_kind:     global_buffer
      - .address_space:  global
        .offset:         40
        .size:           8
        .value_kind:     global_buffer
      - .address_space:  global
        .offset:         48
        .size:           8
        .value_kind:     global_buffer
      - .address_space:  global
        .offset:         56
        .size:           8
        .value_kind:     global_buffer
    .group_segment_fixed_size: 0
    .kernarg_segment_align: 8
    .kernarg_segment_size: 64
    .language:       OpenCL C
    .language_version:
      - 2
      - 0
    .max_flat_workgroup_size: 128
    .name:           _ZN9rocsparseL36gtsv_interleaved_batch_thomas_kernelILj128E21rocsparse_complex_numIdEEEviiiPKT0_S5_S5_PS3_S6_S6_
    .private_segment_fixed_size: 0
    .sgpr_count:     28
    .sgpr_spill_count: 0
    .symbol:         _ZN9rocsparseL36gtsv_interleaved_batch_thomas_kernelILj128E21rocsparse_complex_numIdEEEviiiPKT0_S5_S5_PS3_S6_S6_.kd
    .uniform_work_group_size: 1
    .uses_dynamic_stack: false
    .vgpr_count:     38
    .vgpr_spill_count: 0
    .wavefront_size: 32
    .workgroup_processor_mode: 1
  - .args:
      - .offset:         0
        .size:           4
        .value_kind:     by_value
      - .offset:         4
        .size:           4
        .value_kind:     by_value
      - .offset:         8
        .size:           4
        .value_kind:     by_value
      - .address_space:  global
        .offset:         16
        .size:           8
        .value_kind:     global_buffer
      - .address_space:  global
        .offset:         24
        .size:           8
        .value_kind:     global_buffer
      - .address_space:  global
        .offset:         32
        .size:           8
        .value_kind:     global_buffer
      - .address_space:  global
        .offset:         40
        .size:           8
        .value_kind:     global_buffer
      - .address_space:  global
        .offset:         48
        .size:           8
        .value_kind:     global_buffer
      - .address_space:  global
        .offset:         56
        .size:           8
        .value_kind:     global_buffer
    .group_segment_fixed_size: 8192
    .kernarg_segment_align: 8
    .kernarg_segment_size: 64
    .language:       OpenCL C
    .language_version:
      - 2
      - 0
    .max_flat_workgroup_size: 128
    .name:           _ZN9rocsparseL32gtsv_interleaved_batch_lu_kernelILj128E21rocsparse_complex_numIdEEEviiiPT0_S4_S4_S4_PiS4_
    .private_segment_fixed_size: 24
    .sgpr_count:     28
    .sgpr_spill_count: 0
    .symbol:         _ZN9rocsparseL32gtsv_interleaved_batch_lu_kernelILj128E21rocsparse_complex_numIdEEEviiiPT0_S4_S4_S4_PiS4_.kd
    .uniform_work_group_size: 1
    .uses_dynamic_stack: false
    .vgpr_count:     65
    .vgpr_spill_count: 0
    .wavefront_size: 32
    .workgroup_processor_mode: 1
  - .args:
      - .offset:         0
        .size:           4
        .value_kind:     by_value
      - .offset:         4
        .size:           4
        .value_kind:     by_value
      - .offset:         8
        .size:           4
        .value_kind:     by_value
      - .actual_access:  read_only
        .address_space:  global
        .offset:         16
        .size:           8
        .value_kind:     global_buffer
      - .address_space:  global
        .offset:         24
        .size:           8
        .value_kind:     global_buffer
      - .address_space:  global
        .offset:         32
        .size:           8
        .value_kind:     global_buffer
      - .address_space:  global
        .offset:         40
        .size:           8
        .value_kind:     global_buffer
      - .address_space:  global
        .offset:         48
        .size:           8
        .value_kind:     global_buffer
    .group_segment_fixed_size: 0
    .kernarg_segment_align: 8
    .kernarg_segment_size: 56
    .language:       OpenCL C
    .language_version:
      - 2
      - 0
    .max_flat_workgroup_size: 128
    .name:           _ZN9rocsparseL32gtsv_interleaved_batch_qr_kernelILj128E21rocsparse_complex_numIdEEEviiiPKT0_PS3_S6_S6_S6_
    .private_segment_fixed_size: 0
    .sgpr_count:     22
    .sgpr_spill_count: 0
    .symbol:         _ZN9rocsparseL32gtsv_interleaved_batch_qr_kernelILj128E21rocsparse_complex_numIdEEEviiiPKT0_PS3_S6_S6_S6_.kd
    .uniform_work_group_size: 1
    .uses_dynamic_stack: false
    .vgpr_count:     64
    .vgpr_spill_count: 0
    .wavefront_size: 32
    .workgroup_processor_mode: 1
amdhsa.target:   amdgcn-amd-amdhsa--gfx1030
amdhsa.version:
  - 1
  - 2
...

	.end_amdgpu_metadata
